;; amdgpu-corpus repo=pytorch/pytorch kind=compiled arch=gfx950 opt=O3
	.amdgcn_target "amdgcn-amd-amdhsa--gfx950"
	.amdhsa_code_object_version 6
	.section	.text._ZN2at4cuda3cub15calc_block_sumsILi512ELi16ELb0EhhEEvPKT2_PT3_li,"axG",@progbits,_ZN2at4cuda3cub15calc_block_sumsILi512ELi16ELb0EhhEEvPKT2_PT3_li,comdat
	.protected	_ZN2at4cuda3cub15calc_block_sumsILi512ELi16ELb0EhhEEvPKT2_PT3_li ; -- Begin function _ZN2at4cuda3cub15calc_block_sumsILi512ELi16ELb0EhhEEvPKT2_PT3_li
	.globl	_ZN2at4cuda3cub15calc_block_sumsILi512ELi16ELb0EhhEEvPKT2_PT3_li
	.p2align	8
	.type	_ZN2at4cuda3cub15calc_block_sumsILi512ELi16ELb0EhhEEvPKT2_PT3_li,@function
_ZN2at4cuda3cub15calc_block_sumsILi512ELi16ELb0EhhEEvPKT2_PT3_li: ; @_ZN2at4cuda3cub15calc_block_sumsILi512ELi16ELb0EhhEEvPKT2_PT3_li
; %bb.0:
	s_load_dword s3, s[0:1], 0x18
	s_load_dwordx2 s[10:11], s[0:1], 0x10
	s_waitcnt lgkmcnt(0)
	s_lshl_b32 s4, s3, 13
	s_ashr_i32 s5, s4, 31
	s_mul_hi_u32 s6, s4, s2
	s_mul_i32 s5, s5, s2
	s_add_i32 s14, s6, s5
	s_mul_i32 s15, s4, s2
	s_sub_u32 s8, s10, s15
	s_subb_u32 s9, s11, s14
	v_cmp_lt_i64_e64 s[4:5], s[8:9], 1
	s_and_b64 vcc, exec, s[4:5]
	s_cbranch_vccnz .LBB0_54
; %bb.1:
	s_load_dwordx4 s[4:7], s[0:1], 0x0
	s_mov_b64 s[12:13], -1
	s_cmp_gt_i32 s3, 0
	s_mov_b64 s[0:1], -1
	s_cbranch_scc1 .LBB0_3
; %bb.2:
	s_mov_b64 s[0:1], 0
.LBB0_3:
	s_andn2_b64 vcc, exec, s[0:1]
	v_mov_b32_e32 v8, 0
	s_cbranch_vccnz .LBB0_52
; %bb.4:
	s_waitcnt lgkmcnt(0)
	s_add_u32 s4, s4, s15
	s_mul_i32 s11, s2, s3
	s_addc_u32 s5, s5, s14
	v_mov_b32_e32 v1, 0
	s_lshl_b32 s11, s11, 13
	v_mbcnt_lo_u32_b32 v4, -1, 0
	v_add_u32_e32 v9, 0x200, v0
	v_or_b32_e32 v10, 0x400, v0
	v_add_u32_e32 v11, 0x600, v0
	v_or_b32_e32 v12, 0x800, v0
	;; [unrolled: 2-line block ×7, first 2 shown]
	v_add_u32_e32 v23, 0x1e00, v0
	v_lshrrev_b32_e32 v24, 6, v0
	v_cmp_gt_u32_e64 s[0:1], 64, v0
	s_sub_i32 s14, s10, s11
	v_mov_b64_e32 v[2:3], 0x2000
	v_mbcnt_hi_u32_b32 v25, -1, v4
	v_mov_b64_e32 v[4:5], 0x2001
	v_mov_b32_e32 v8, v1
	s_branch .LBB0_6
.LBB0_5:                                ;   in Loop: Header=BB0_6 Depth=1
	s_add_u32 s4, s4, 0x2000
	s_addc_u32 s5, s5, 0
	s_add_u32 s8, s8, 0xffffe000
	s_addc_u32 s9, s9, -1
	s_addk_i32 s14, 0xe000
	s_add_i32 s3, s3, -1
	s_cmp_eq_u32 s3, 0
	s_mov_b64 s[12:13], -1
	s_cselect_b64 s[10:11], -1, 0
	s_barrier
	s_andn2_b64 vcc, exec, s[10:11]
	v_add_u16_e32 v8, v26, v8
	s_cbranch_vccz .LBB0_52
.LBB0_6:                                ; =>This Inner Loop Header: Depth=1
	v_cmp_lt_i64_e32 vcc, s[8:9], v[2:3]
	s_mov_b64 s[10:11], -1
	v_lshl_add_u64 v[6:7], s[4:5], 0, v[0:1]
                                        ; implicit-def: $vgpr26
	s_cbranch_vccnz .LBB0_9
; %bb.7:                                ;   in Loop: Header=BB0_6 Depth=1
	s_and_b64 vcc, exec, s[10:11]
	s_cbranch_vccnz .LBB0_32
.LBB0_8:                                ;   in Loop: Header=BB0_6 Depth=1
	v_cmp_lt_i64_e32 vcc, s[8:9], v[4:5]
	s_cbranch_vccz .LBB0_5
	s_branch .LBB0_37
.LBB0_9:                                ;   in Loop: Header=BB0_6 Depth=1
	v_cmp_gt_u32_e32 vcc, s14, v0
	v_mov_b32_e32 v26, 0
	v_mov_b32_e32 v27, 0
	;; [unrolled: 1-line block ×15, first 2 shown]
	s_and_saveexec_b64 s[10:11], vcc
	s_cbranch_execz .LBB0_11
; %bb.10:                               ;   in Loop: Header=BB0_6 Depth=1
	global_load_ubyte v27, v[6:7], off
	v_mov_b32_e32 v28, 0
	v_mov_b32_e32 v29, 0
	;; [unrolled: 1-line block ×13, first 2 shown]
.LBB0_11:                               ;   in Loop: Header=BB0_6 Depth=1
	s_or_b64 exec, exec, s[10:11]
	v_cmp_gt_u32_e32 vcc, s14, v9
	v_mov_b32_e32 v41, v26
	s_and_saveexec_b64 s[10:11], vcc
	s_cbranch_execnz .LBB0_38
; %bb.12:                               ;   in Loop: Header=BB0_6 Depth=1
	s_or_b64 exec, exec, s[10:11]
	v_cmp_gt_u32_e32 vcc, s14, v10
	s_and_saveexec_b64 s[10:11], vcc
	s_cbranch_execnz .LBB0_39
.LBB0_13:                               ;   in Loop: Header=BB0_6 Depth=1
	s_or_b64 exec, exec, s[10:11]
	v_cmp_gt_u32_e32 vcc, s14, v11
	s_and_saveexec_b64 s[10:11], vcc
	s_cbranch_execnz .LBB0_40
.LBB0_14:                               ;   in Loop: Header=BB0_6 Depth=1
	s_or_b64 exec, exec, s[10:11]
	v_cmp_gt_u32_e32 vcc, s14, v12
	s_and_saveexec_b64 s[10:11], vcc
	s_cbranch_execnz .LBB0_41
.LBB0_15:                               ;   in Loop: Header=BB0_6 Depth=1
	s_or_b64 exec, exec, s[10:11]
	v_cmp_gt_u32_e32 vcc, s14, v13
	s_and_saveexec_b64 s[10:11], vcc
	s_cbranch_execnz .LBB0_42
.LBB0_16:                               ;   in Loop: Header=BB0_6 Depth=1
	s_or_b64 exec, exec, s[10:11]
	v_cmp_gt_u32_e32 vcc, s14, v14
	s_and_saveexec_b64 s[10:11], vcc
	s_cbranch_execnz .LBB0_43
.LBB0_17:                               ;   in Loop: Header=BB0_6 Depth=1
	s_or_b64 exec, exec, s[10:11]
	v_cmp_gt_u32_e32 vcc, s14, v15
	s_and_saveexec_b64 s[10:11], vcc
	s_cbranch_execnz .LBB0_44
.LBB0_18:                               ;   in Loop: Header=BB0_6 Depth=1
	s_or_b64 exec, exec, s[10:11]
	v_cmp_gt_u32_e32 vcc, s14, v16
	s_and_saveexec_b64 s[10:11], vcc
	s_cbranch_execnz .LBB0_45
.LBB0_19:                               ;   in Loop: Header=BB0_6 Depth=1
	s_or_b64 exec, exec, s[10:11]
	v_cmp_gt_u32_e32 vcc, s14, v17
	s_and_saveexec_b64 s[10:11], vcc
	s_cbranch_execnz .LBB0_46
.LBB0_20:                               ;   in Loop: Header=BB0_6 Depth=1
	s_or_b64 exec, exec, s[10:11]
	v_cmp_gt_u32_e32 vcc, s14, v18
	s_and_saveexec_b64 s[10:11], vcc
	s_cbranch_execnz .LBB0_47
.LBB0_21:                               ;   in Loop: Header=BB0_6 Depth=1
	s_or_b64 exec, exec, s[10:11]
	v_cmp_gt_u32_e32 vcc, s14, v19
	s_and_saveexec_b64 s[10:11], vcc
	s_cbranch_execnz .LBB0_48
.LBB0_22:                               ;   in Loop: Header=BB0_6 Depth=1
	s_or_b64 exec, exec, s[10:11]
	v_cmp_gt_u32_e32 vcc, s14, v20
	s_and_saveexec_b64 s[10:11], vcc
	s_cbranch_execnz .LBB0_49
.LBB0_23:                               ;   in Loop: Header=BB0_6 Depth=1
	s_or_b64 exec, exec, s[10:11]
	v_cmp_gt_u32_e32 vcc, s14, v21
	s_and_saveexec_b64 s[10:11], vcc
	s_cbranch_execnz .LBB0_50
.LBB0_24:                               ;   in Loop: Header=BB0_6 Depth=1
	s_or_b64 exec, exec, s[10:11]
	v_cmp_gt_u32_e32 vcc, s14, v22
	s_and_saveexec_b64 s[10:11], vcc
	s_cbranch_execnz .LBB0_51
.LBB0_25:                               ;   in Loop: Header=BB0_6 Depth=1
	s_or_b64 exec, exec, s[10:11]
	v_cmp_gt_u32_e32 vcc, s14, v23
	s_and_saveexec_b64 s[10:11], vcc
	s_cbranch_execz .LBB0_27
.LBB0_26:                               ;   in Loop: Header=BB0_6 Depth=1
	v_add_co_u32_e32 v42, vcc, 0x1000, v6
	s_nop 1
	v_addc_co_u32_e32 v43, vcc, 0, v7, vcc
	global_load_ubyte v40, v[42:43], off offset:3584
.LBB0_27:                               ;   in Loop: Header=BB0_6 Depth=1
	s_or_b64 exec, exec, s[10:11]
	s_waitcnt vmcnt(0)
	v_add_u16_e32 v27, v41, v27
	v_add_u16_e32 v26, v27, v26
	;; [unrolled: 1-line block ×15, first 2 shown]
	v_and_b32_e32 v27, 0xff, v26
	v_cmp_eq_u32_e32 vcc, 0, v25
	s_nop 0
	v_mov_b32_dpp v27, v27 quad_perm:[1,0,3,2] row_mask:0xf bank_mask:0xf
	v_add_u16_e32 v26, v26, v27
	v_and_b32_e32 v27, 0xff, v26
	s_barrier
	s_nop 0
	v_mov_b32_dpp v27, v27 quad_perm:[2,3,0,1] row_mask:0xf bank_mask:0xf
	v_add_u16_e32 v26, v26, v27
	v_and_b32_e32 v27, 0xff, v26
	s_nop 1
	v_mov_b32_dpp v27, v27 row_ror:4 row_mask:0xf bank_mask:0xf
	v_add_u16_e32 v26, v26, v27
	v_and_b32_e32 v27, 0xff, v26
	s_nop 1
	v_mov_b32_dpp v27, v27 row_ror:8 row_mask:0xf bank_mask:0xf
	v_add_u16_e32 v26, v26, v27
	v_and_b32_e32 v27, 0xff, v26
	s_nop 1
	v_mov_b32_dpp v27, v27 row_bcast:15 row_mask:0xf bank_mask:0xf
	v_add_u16_e32 v26, v26, v27
	v_and_b32_e32 v27, 0xff, v26
	s_nop 1
	v_mov_b32_dpp v27, v27 row_bcast:31 row_mask:0xf bank_mask:0xf
	v_add_u16_e32 v26, v26, v27
	v_lshlrev_b32_e32 v27, 2, v25
	v_or_b32_e32 v28, 0xfc, v27
	v_and_b32_e32 v26, 0xff, v26
	ds_bpermute_b32 v26, v28, v26
	s_and_saveexec_b64 s[10:11], vcc
	s_cbranch_execz .LBB0_29
; %bb.28:                               ;   in Loop: Header=BB0_6 Depth=1
	s_waitcnt lgkmcnt(0)
	ds_write_b8 v24, v26
.LBB0_29:                               ;   in Loop: Header=BB0_6 Depth=1
	s_or_b64 exec, exec, s[10:11]
	s_waitcnt lgkmcnt(0)
	s_barrier
	s_and_saveexec_b64 s[10:11], s[0:1]
	s_cbranch_execz .LBB0_31
; %bb.30:                               ;   in Loop: Header=BB0_6 Depth=1
	v_and_b32_e32 v26, 7, v25
	ds_read_u8 v28, v26
	v_cmp_ne_u32_e32 vcc, 7, v26
	v_or_b32_e32 v27, 16, v27
	s_waitcnt lgkmcnt(0)
	v_and_b32_e32 v30, 0xff, v28
	v_addc_co_u32_e32 v29, vcc, 0, v25, vcc
	v_lshlrev_b32_e32 v29, 2, v29
	ds_bpermute_b32 v29, v29, v30
	v_cmp_gt_u32_e32 vcc, 6, v26
	s_waitcnt lgkmcnt(0)
	v_add_u16_e32 v28, v28, v29
	v_cndmask_b32_e64 v26, 0, 2, vcc
	v_add_lshl_u32 v26, v26, v25, 2
	v_and_b32_e32 v29, 0xff, v28
	ds_bpermute_b32 v26, v26, v29
	s_waitcnt lgkmcnt(0)
	v_add_u16_e32 v26, v28, v26
	v_and_b32_e32 v28, 0xff, v26
	ds_bpermute_b32 v27, v27, v28
	s_waitcnt lgkmcnt(0)
	v_add_u16_e32 v26, v26, v27
.LBB0_31:                               ;   in Loop: Header=BB0_6 Depth=1
	s_or_b64 exec, exec, s[10:11]
	s_branch .LBB0_8
.LBB0_32:                               ;   in Loop: Header=BB0_6 Depth=1
	global_load_ubyte v26, v[6:7], off
	global_load_ubyte v27, v[6:7], off offset:512
	global_load_ubyte v28, v[6:7], off offset:1024
	;; [unrolled: 1-line block ×7, first 2 shown]
	v_add_co_u32_e32 v6, vcc, 0x1000, v6
	s_nop 1
	v_addc_co_u32_e32 v7, vcc, 0, v7, vcc
	global_load_ubyte v34, v[6:7], off
	global_load_ubyte v35, v[6:7], off offset:512
	global_load_ubyte v36, v[6:7], off offset:1024
	;; [unrolled: 1-line block ×7, first 2 shown]
	v_lshlrev_b32_e32 v6, 2, v25
	v_cmp_eq_u32_e32 vcc, 0, v25
	s_barrier
	s_waitcnt vmcnt(14)
	v_add_u16_e32 v7, v27, v26
	s_waitcnt vmcnt(13)
	v_add_u16_e32 v7, v7, v28
	s_waitcnt vmcnt(12)
	v_add_u16_e32 v7, v7, v29
	s_waitcnt vmcnt(11)
	v_add_u16_e32 v7, v7, v30
	s_waitcnt vmcnt(10)
	v_add_u16_e32 v7, v7, v31
	s_waitcnt vmcnt(9)
	v_add_u16_e32 v7, v7, v32
	s_waitcnt vmcnt(8)
	v_add_u16_e32 v7, v7, v33
	s_waitcnt vmcnt(7)
	v_add_u16_e32 v7, v7, v34
	s_waitcnt vmcnt(6)
	v_add_u16_e32 v7, v7, v35
	s_waitcnt vmcnt(5)
	v_add_u16_e32 v7, v7, v36
	s_waitcnt vmcnt(4)
	v_add_u16_e32 v7, v7, v37
	s_waitcnt vmcnt(3)
	v_add_u16_e32 v7, v7, v38
	s_waitcnt vmcnt(2)
	v_add_u16_e32 v7, v7, v39
	s_waitcnt vmcnt(1)
	v_add_u16_e32 v7, v7, v40
	s_waitcnt vmcnt(0)
	v_add_u16_e32 v7, v7, v41
	v_and_b32_e32 v26, 0xff, v7
	s_nop 1
	v_mov_b32_dpp v26, v26 quad_perm:[1,0,3,2] row_mask:0xf bank_mask:0xf
	v_add_u16_e32 v7, v7, v26
	v_and_b32_e32 v26, 0xff, v7
	s_nop 1
	v_mov_b32_dpp v26, v26 quad_perm:[2,3,0,1] row_mask:0xf bank_mask:0xf
	v_add_u16_e32 v7, v7, v26
	v_and_b32_e32 v26, 0xff, v7
	s_nop 1
	v_mov_b32_dpp v26, v26 row_ror:4 row_mask:0xf bank_mask:0xf
	v_add_u16_e32 v7, v7, v26
	v_and_b32_e32 v26, 0xff, v7
	s_nop 1
	v_mov_b32_dpp v26, v26 row_ror:8 row_mask:0xf bank_mask:0xf
	v_add_u16_e32 v7, v7, v26
	v_and_b32_e32 v26, 0xff, v7
	s_nop 1
	v_mov_b32_dpp v26, v26 row_bcast:15 row_mask:0xf bank_mask:0xf
	v_add_u16_e32 v7, v7, v26
	v_and_b32_e32 v26, 0xff, v7
	s_nop 1
	v_mov_b32_dpp v26, v26 row_bcast:31 row_mask:0xf bank_mask:0xf
	v_add_u16_e32 v7, v7, v26
	v_or_b32_e32 v26, 0xfc, v6
	v_and_b32_e32 v7, 0xff, v7
	ds_bpermute_b32 v26, v26, v7
	s_and_saveexec_b64 s[10:11], vcc
	s_cbranch_execz .LBB0_34
; %bb.33:                               ;   in Loop: Header=BB0_6 Depth=1
	s_waitcnt lgkmcnt(0)
	ds_write_b8 v24, v26
.LBB0_34:                               ;   in Loop: Header=BB0_6 Depth=1
	s_or_b64 exec, exec, s[10:11]
	s_waitcnt lgkmcnt(0)
	s_barrier
	s_and_saveexec_b64 s[10:11], s[0:1]
	s_cbranch_execz .LBB0_36
; %bb.35:                               ;   in Loop: Header=BB0_6 Depth=1
	v_and_b32_e32 v7, 7, v25
	ds_read_u8 v26, v7
	v_cmp_ne_u32_e32 vcc, 7, v7
	v_or_b32_e32 v6, 16, v6
	s_waitcnt lgkmcnt(0)
	v_and_b32_e32 v28, 0xff, v26
	v_addc_co_u32_e32 v27, vcc, 0, v25, vcc
	v_lshlrev_b32_e32 v27, 2, v27
	ds_bpermute_b32 v27, v27, v28
	v_cmp_gt_u32_e32 vcc, 6, v7
	s_waitcnt lgkmcnt(0)
	v_add_u16_e32 v26, v26, v27
	v_cndmask_b32_e64 v7, 0, 2, vcc
	v_add_lshl_u32 v7, v7, v25, 2
	v_and_b32_e32 v27, 0xff, v26
	ds_bpermute_b32 v7, v7, v27
	s_waitcnt lgkmcnt(0)
	v_add_u16_e32 v7, v26, v7
	v_and_b32_e32 v26, 0xff, v7
	ds_bpermute_b32 v6, v6, v26
	s_waitcnt lgkmcnt(0)
	v_add_u16_e32 v26, v7, v6
.LBB0_36:                               ;   in Loop: Header=BB0_6 Depth=1
	s_or_b64 exec, exec, s[10:11]
	v_cmp_lt_i64_e32 vcc, s[8:9], v[4:5]
	s_cbranch_vccz .LBB0_5
.LBB0_37:
	s_mov_b64 s[12:13], 0
                                        ; implicit-def: $sgpr4_sgpr5
                                        ; implicit-def: $sgpr8_sgpr9
                                        ; implicit-def: $sgpr14
                                        ; implicit-def: $sgpr3
	v_add_u16_e32 v8, v26, v8
	s_branch .LBB0_52
.LBB0_38:                               ;   in Loop: Header=BB0_6 Depth=1
	global_load_ubyte v41, v[6:7], off offset:512
	s_or_b64 exec, exec, s[10:11]
	v_cmp_gt_u32_e32 vcc, s14, v10
	s_and_saveexec_b64 s[10:11], vcc
	s_cbranch_execz .LBB0_13
.LBB0_39:                               ;   in Loop: Header=BB0_6 Depth=1
	global_load_ubyte v26, v[6:7], off offset:1024
	s_or_b64 exec, exec, s[10:11]
	v_cmp_gt_u32_e32 vcc, s14, v11
	s_and_saveexec_b64 s[10:11], vcc
	s_cbranch_execz .LBB0_14
.LBB0_40:                               ;   in Loop: Header=BB0_6 Depth=1
	global_load_ubyte v28, v[6:7], off offset:1536
	s_or_b64 exec, exec, s[10:11]
	v_cmp_gt_u32_e32 vcc, s14, v12
	s_and_saveexec_b64 s[10:11], vcc
	s_cbranch_execz .LBB0_15
.LBB0_41:                               ;   in Loop: Header=BB0_6 Depth=1
	global_load_ubyte v29, v[6:7], off offset:2048
	s_or_b64 exec, exec, s[10:11]
	v_cmp_gt_u32_e32 vcc, s14, v13
	s_and_saveexec_b64 s[10:11], vcc
	s_cbranch_execz .LBB0_16
.LBB0_42:                               ;   in Loop: Header=BB0_6 Depth=1
	global_load_ubyte v30, v[6:7], off offset:2560
	s_or_b64 exec, exec, s[10:11]
	v_cmp_gt_u32_e32 vcc, s14, v14
	s_and_saveexec_b64 s[10:11], vcc
	s_cbranch_execz .LBB0_17
.LBB0_43:                               ;   in Loop: Header=BB0_6 Depth=1
	global_load_ubyte v31, v[6:7], off offset:3072
	s_or_b64 exec, exec, s[10:11]
	v_cmp_gt_u32_e32 vcc, s14, v15
	s_and_saveexec_b64 s[10:11], vcc
	s_cbranch_execz .LBB0_18
.LBB0_44:                               ;   in Loop: Header=BB0_6 Depth=1
	global_load_ubyte v32, v[6:7], off offset:3584
	s_or_b64 exec, exec, s[10:11]
	v_cmp_gt_u32_e32 vcc, s14, v16
	s_and_saveexec_b64 s[10:11], vcc
	s_cbranch_execz .LBB0_19
.LBB0_45:                               ;   in Loop: Header=BB0_6 Depth=1
	v_add_co_u32_e32 v42, vcc, 0x1000, v6
	s_nop 1
	v_addc_co_u32_e32 v43, vcc, 0, v7, vcc
	global_load_ubyte v33, v[42:43], off
	s_or_b64 exec, exec, s[10:11]
	v_cmp_gt_u32_e32 vcc, s14, v17
	s_and_saveexec_b64 s[10:11], vcc
	s_cbranch_execz .LBB0_20
.LBB0_46:                               ;   in Loop: Header=BB0_6 Depth=1
	v_add_co_u32_e32 v42, vcc, 0x1000, v6
	s_nop 1
	v_addc_co_u32_e32 v43, vcc, 0, v7, vcc
	global_load_ubyte v34, v[42:43], off offset:512
	s_or_b64 exec, exec, s[10:11]
	v_cmp_gt_u32_e32 vcc, s14, v18
	s_and_saveexec_b64 s[10:11], vcc
	s_cbranch_execz .LBB0_21
.LBB0_47:                               ;   in Loop: Header=BB0_6 Depth=1
	v_add_co_u32_e32 v42, vcc, 0x1000, v6
	s_nop 1
	v_addc_co_u32_e32 v43, vcc, 0, v7, vcc
	global_load_ubyte v35, v[42:43], off offset:1024
	s_or_b64 exec, exec, s[10:11]
	v_cmp_gt_u32_e32 vcc, s14, v19
	s_and_saveexec_b64 s[10:11], vcc
	s_cbranch_execz .LBB0_22
.LBB0_48:                               ;   in Loop: Header=BB0_6 Depth=1
	v_add_co_u32_e32 v42, vcc, 0x1000, v6
	s_nop 1
	v_addc_co_u32_e32 v43, vcc, 0, v7, vcc
	global_load_ubyte v36, v[42:43], off offset:1536
	s_or_b64 exec, exec, s[10:11]
	v_cmp_gt_u32_e32 vcc, s14, v20
	s_and_saveexec_b64 s[10:11], vcc
	s_cbranch_execz .LBB0_23
.LBB0_49:                               ;   in Loop: Header=BB0_6 Depth=1
	v_add_co_u32_e32 v42, vcc, 0x1000, v6
	s_nop 1
	v_addc_co_u32_e32 v43, vcc, 0, v7, vcc
	global_load_ubyte v37, v[42:43], off offset:2048
	s_or_b64 exec, exec, s[10:11]
	v_cmp_gt_u32_e32 vcc, s14, v21
	s_and_saveexec_b64 s[10:11], vcc
	s_cbranch_execz .LBB0_24
.LBB0_50:                               ;   in Loop: Header=BB0_6 Depth=1
	v_add_co_u32_e32 v42, vcc, 0x1000, v6
	s_nop 1
	v_addc_co_u32_e32 v43, vcc, 0, v7, vcc
	global_load_ubyte v38, v[42:43], off offset:2560
	s_or_b64 exec, exec, s[10:11]
	v_cmp_gt_u32_e32 vcc, s14, v22
	s_and_saveexec_b64 s[10:11], vcc
	s_cbranch_execz .LBB0_25
.LBB0_51:                               ;   in Loop: Header=BB0_6 Depth=1
	v_add_co_u32_e32 v42, vcc, 0x1000, v6
	s_nop 1
	v_addc_co_u32_e32 v43, vcc, 0, v7, vcc
	global_load_ubyte v39, v[42:43], off offset:3072
	s_or_b64 exec, exec, s[10:11]
	v_cmp_gt_u32_e32 vcc, s14, v23
	s_and_saveexec_b64 s[10:11], vcc
	s_cbranch_execnz .LBB0_26
	s_branch .LBB0_27
.LBB0_52:
	v_cmp_eq_u32_e32 vcc, 0, v0
	s_and_b64 s[0:1], vcc, s[12:13]
	s_waitcnt lgkmcnt(0)
	s_and_saveexec_b64 s[4:5], s[0:1]
	s_cbranch_execz .LBB0_54
; %bb.53:
	s_add_u32 s0, s6, s2
	s_addc_u32 s1, s7, 0
	v_mov_b32_e32 v0, 0
	global_store_byte v0, v8, s[0:1]
.LBB0_54:
	s_endpgm
	.section	.rodata,"a",@progbits
	.p2align	6, 0x0
	.amdhsa_kernel _ZN2at4cuda3cub15calc_block_sumsILi512ELi16ELb0EhhEEvPKT2_PT3_li
		.amdhsa_group_segment_fixed_size 8
		.amdhsa_private_segment_fixed_size 0
		.amdhsa_kernarg_size 28
		.amdhsa_user_sgpr_count 2
		.amdhsa_user_sgpr_dispatch_ptr 0
		.amdhsa_user_sgpr_queue_ptr 0
		.amdhsa_user_sgpr_kernarg_segment_ptr 1
		.amdhsa_user_sgpr_dispatch_id 0
		.amdhsa_user_sgpr_kernarg_preload_length 0
		.amdhsa_user_sgpr_kernarg_preload_offset 0
		.amdhsa_user_sgpr_private_segment_size 0
		.amdhsa_uses_dynamic_stack 0
		.amdhsa_enable_private_segment 0
		.amdhsa_system_sgpr_workgroup_id_x 1
		.amdhsa_system_sgpr_workgroup_id_y 0
		.amdhsa_system_sgpr_workgroup_id_z 0
		.amdhsa_system_sgpr_workgroup_info 0
		.amdhsa_system_vgpr_workitem_id 0
		.amdhsa_next_free_vgpr 44
		.amdhsa_next_free_sgpr 16
		.amdhsa_accum_offset 44
		.amdhsa_reserve_vcc 1
		.amdhsa_float_round_mode_32 0
		.amdhsa_float_round_mode_16_64 0
		.amdhsa_float_denorm_mode_32 3
		.amdhsa_float_denorm_mode_16_64 3
		.amdhsa_dx10_clamp 1
		.amdhsa_ieee_mode 1
		.amdhsa_fp16_overflow 0
		.amdhsa_tg_split 0
		.amdhsa_exception_fp_ieee_invalid_op 0
		.amdhsa_exception_fp_denorm_src 0
		.amdhsa_exception_fp_ieee_div_zero 0
		.amdhsa_exception_fp_ieee_overflow 0
		.amdhsa_exception_fp_ieee_underflow 0
		.amdhsa_exception_fp_ieee_inexact 0
		.amdhsa_exception_int_div_zero 0
	.end_amdhsa_kernel
	.section	.text._ZN2at4cuda3cub15calc_block_sumsILi512ELi16ELb0EhhEEvPKT2_PT3_li,"axG",@progbits,_ZN2at4cuda3cub15calc_block_sumsILi512ELi16ELb0EhhEEvPKT2_PT3_li,comdat
.Lfunc_end0:
	.size	_ZN2at4cuda3cub15calc_block_sumsILi512ELi16ELb0EhhEEvPKT2_PT3_li, .Lfunc_end0-_ZN2at4cuda3cub15calc_block_sumsILi512ELi16ELb0EhhEEvPKT2_PT3_li
                                        ; -- End function
	.set _ZN2at4cuda3cub15calc_block_sumsILi512ELi16ELb0EhhEEvPKT2_PT3_li.num_vgpr, 44
	.set _ZN2at4cuda3cub15calc_block_sumsILi512ELi16ELb0EhhEEvPKT2_PT3_li.num_agpr, 0
	.set _ZN2at4cuda3cub15calc_block_sumsILi512ELi16ELb0EhhEEvPKT2_PT3_li.numbered_sgpr, 16
	.set _ZN2at4cuda3cub15calc_block_sumsILi512ELi16ELb0EhhEEvPKT2_PT3_li.num_named_barrier, 0
	.set _ZN2at4cuda3cub15calc_block_sumsILi512ELi16ELb0EhhEEvPKT2_PT3_li.private_seg_size, 0
	.set _ZN2at4cuda3cub15calc_block_sumsILi512ELi16ELb0EhhEEvPKT2_PT3_li.uses_vcc, 1
	.set _ZN2at4cuda3cub15calc_block_sumsILi512ELi16ELb0EhhEEvPKT2_PT3_li.uses_flat_scratch, 0
	.set _ZN2at4cuda3cub15calc_block_sumsILi512ELi16ELb0EhhEEvPKT2_PT3_li.has_dyn_sized_stack, 0
	.set _ZN2at4cuda3cub15calc_block_sumsILi512ELi16ELb0EhhEEvPKT2_PT3_li.has_recursion, 0
	.set _ZN2at4cuda3cub15calc_block_sumsILi512ELi16ELb0EhhEEvPKT2_PT3_li.has_indirect_call, 0
	.section	.AMDGPU.csdata,"",@progbits
; Kernel info:
; codeLenInByte = 2356
; TotalNumSgprs: 22
; NumVgprs: 44
; NumAgprs: 0
; TotalNumVgprs: 44
; ScratchSize: 0
; MemoryBound: 0
; FloatMode: 240
; IeeeMode: 1
; LDSByteSize: 8 bytes/workgroup (compile time only)
; SGPRBlocks: 2
; VGPRBlocks: 5
; NumSGPRsForWavesPerEU: 22
; NumVGPRsForWavesPerEU: 44
; AccumOffset: 44
; Occupancy: 8
; WaveLimiterHint : 1
; COMPUTE_PGM_RSRC2:SCRATCH_EN: 0
; COMPUTE_PGM_RSRC2:USER_SGPR: 2
; COMPUTE_PGM_RSRC2:TRAP_HANDLER: 0
; COMPUTE_PGM_RSRC2:TGID_X_EN: 1
; COMPUTE_PGM_RSRC2:TGID_Y_EN: 0
; COMPUTE_PGM_RSRC2:TGID_Z_EN: 0
; COMPUTE_PGM_RSRC2:TIDIG_COMP_CNT: 0
; COMPUTE_PGM_RSRC3_GFX90A:ACCUM_OFFSET: 10
; COMPUTE_PGM_RSRC3_GFX90A:TG_SPLIT: 0
	.section	.text._ZN2at4cuda3cub17final_scan_kernelILi512ELi16EhEEvPKT1_PS3_S6_li,"axG",@progbits,_ZN2at4cuda3cub17final_scan_kernelILi512ELi16EhEEvPKT1_PS3_S6_li,comdat
	.protected	_ZN2at4cuda3cub17final_scan_kernelILi512ELi16EhEEvPKT1_PS3_S6_li ; -- Begin function _ZN2at4cuda3cub17final_scan_kernelILi512ELi16EhEEvPKT1_PS3_S6_li
	.globl	_ZN2at4cuda3cub17final_scan_kernelILi512ELi16EhEEvPKT1_PS3_S6_li
	.p2align	8
	.type	_ZN2at4cuda3cub17final_scan_kernelILi512ELi16EhEEvPKT1_PS3_S6_li,@function
_ZN2at4cuda3cub17final_scan_kernelILi512ELi16EhEEvPKT1_PS3_S6_li: ; @_ZN2at4cuda3cub17final_scan_kernelILi512ELi16EhEEvPKT1_PS3_S6_li
; %bb.0:
	s_load_dword s33, s[0:1], 0x20
	s_load_dwordx8 s[36:43], s[0:1], 0x0
	s_waitcnt lgkmcnt(0)
	s_lshl_b32 s3, s33, 13
	s_ashr_i32 s4, s3, 31
	s_mul_hi_u32 s5, s3, s2
	s_mul_i32 s4, s4, s2
	s_add_i32 s31, s5, s4
	s_mul_i32 s30, s3, s2
	s_sub_u32 s44, s42, s30
	s_subb_u32 s45, s43, s31
	v_cmp_lt_i64_e64 s[4:5], s[44:45], 1
	s_and_b64 vcc, exec, s[4:5]
	s_cbranch_vccnz .LBB1_98
; %bb.1:
	v_cmp_gt_u32_e32 vcc, s2, v0
	v_mov_b32_e32 v1, 0
	s_and_saveexec_b64 s[4:5], vcc
	s_cbranch_execz .LBB1_3
; %bb.2:
	global_load_ubyte v1, v0, s[40:41]
.LBB1_3:
	s_or_b64 exec, exec, s[4:5]
	s_load_dword s0, s[0:1], 0x34
	s_waitcnt lgkmcnt(0)
	s_and_b32 s3, s0, 0xffff
	v_add_u32_e32 v2, s3, v0
	v_cmp_gt_u32_e32 vcc, s2, v2
	s_and_saveexec_b64 s[0:1], vcc
	s_cbranch_execz .LBB1_7
; %bb.4:
	s_mov_b64 s[4:5], 0
.LBB1_5:                                ; =>This Inner Loop Header: Depth=1
	global_load_ubyte v3, v2, s[40:41]
	v_add_u32_e32 v2, s3, v2
	v_cmp_le_u32_e32 vcc, s2, v2
	s_or_b64 s[4:5], vcc, s[4:5]
	s_waitcnt vmcnt(0)
	v_add_u16_e32 v1, v3, v1
	s_andn2_b64 exec, exec, s[4:5]
	s_cbranch_execnz .LBB1_5
; %bb.6:
	s_or_b64 exec, exec, s[4:5]
.LBB1_7:
	s_or_b64 exec, exec, s[0:1]
	v_mbcnt_lo_u32_b32 v2, -1, 0
	v_mbcnt_hi_u32_b32 v8, -1, v2
	s_waitcnt vmcnt(0)
	v_and_b32_e32 v2, 0xff, v1
	v_cmp_eq_u32_e64 s[0:1], 0, v8
	s_nop 0
	v_mov_b32_dpp v2, v2 quad_perm:[1,0,3,2] row_mask:0xf bank_mask:0xf
	v_add_u16_e32 v1, v1, v2
	v_and_b32_e32 v2, 0xff, v1
	s_nop 1
	v_mov_b32_dpp v2, v2 quad_perm:[2,3,0,1] row_mask:0xf bank_mask:0xf
	v_add_u16_e32 v1, v1, v2
	v_and_b32_e32 v2, 0xff, v1
	s_nop 1
	v_mov_b32_dpp v2, v2 row_ror:4 row_mask:0xf bank_mask:0xf
	v_add_u16_e32 v1, v1, v2
	v_and_b32_e32 v2, 0xff, v1
	s_nop 1
	v_mov_b32_dpp v2, v2 row_ror:8 row_mask:0xf bank_mask:0xf
	v_add_u16_e32 v1, v1, v2
	v_and_b32_e32 v2, 0xff, v1
	s_nop 1
	v_mov_b32_dpp v2, v2 row_bcast:15 row_mask:0xf bank_mask:0xf
	v_add_u16_e32 v1, v1, v2
	v_and_b32_e32 v2, 0xff, v1
	s_nop 1
	v_mov_b32_dpp v2, v2 row_bcast:31 row_mask:0xf bank_mask:0xf
	v_add_u16_e32 v1, v1, v2
	v_lshlrev_b32_e32 v2, 2, v8
	v_or_b32_e32 v3, 0xfc, v2
	v_and_b32_e32 v1, 0xff, v1
	ds_bpermute_b32 v22, v3, v1
	v_lshrrev_b32_e32 v1, 6, v0
	s_and_saveexec_b64 s[4:5], s[0:1]
	s_cbranch_execz .LBB1_9
; %bb.8:
	s_waitcnt lgkmcnt(0)
	ds_write_b8 v1, v22
.LBB1_9:
	s_or_b64 exec, exec, s[4:5]
	v_cmp_lt_u32_e64 s[34:35], 63, v0
	v_cmp_gt_u32_e64 s[4:5], 64, v0
	v_and_b32_e32 v3, 7, v8
	s_waitcnt lgkmcnt(0)
	s_barrier
	s_and_saveexec_b64 s[6:7], s[4:5]
	s_cbranch_execz .LBB1_11
; %bb.10:
	ds_read_u8 v4, v3
	v_cmp_ne_u32_e32 vcc, 7, v3
	v_or_b32_e32 v2, 16, v2
	s_waitcnt lgkmcnt(0)
	v_and_b32_e32 v6, 0xff, v4
	v_addc_co_u32_e32 v5, vcc, 0, v8, vcc
	v_lshlrev_b32_e32 v5, 2, v5
	ds_bpermute_b32 v5, v5, v6
	v_cmp_gt_u32_e32 vcc, 6, v3
	s_waitcnt lgkmcnt(0)
	v_add_u16_e32 v4, v4, v5
	v_cndmask_b32_e64 v6, 0, 2, vcc
	v_add_lshl_u32 v6, v6, v8, 2
	v_and_b32_e32 v5, 0xff, v4
	ds_bpermute_b32 v5, v6, v5
	s_waitcnt lgkmcnt(0)
	v_add_u16_e32 v4, v4, v5
	v_and_b32_e32 v5, 0xff, v4
	ds_bpermute_b32 v2, v2, v5
	s_waitcnt lgkmcnt(0)
	v_add_u16_e32 v22, v4, v2
.LBB1_11:
	s_or_b64 exec, exec, s[6:7]
	s_cmp_lt_i32 s33, 1
	s_barrier
	s_cbranch_scc1 .LBB1_98
; %bb.12:
	v_lshlrev_b32_e32 v2, 4, v0
	v_and_b32_e32 v4, 0x3c00, v2
	v_or_b32_e32 v23, v8, v4
	v_add_u32_e32 v24, 64, v23
	v_or_b32_e32 v25, 0x80, v23
	v_lshrrev_b32_e32 v6, 5, v24
	v_add_u32_e32 v26, 0xc0, v23
	v_and_b32_e32 v40, 0x1e4, v6
	v_lshrrev_b32_e32 v6, 5, v25
	v_or_b32_e32 v27, 0x100, v23
	v_and_b32_e32 v41, 0x1e4, v6
	v_lshrrev_b32_e32 v6, 5, v26
	v_add_u32_e32 v28, 0x140, v23
	v_and_b32_e32 v42, 0x1ec, v6
	v_lshrrev_b32_e32 v6, 5, v27
	v_or_b32_e32 v29, 0x180, v23
	v_and_b32_e32 v43, 0x1e8, v6
	;; [unrolled: 6-line block ×6, first 2 shown]
	v_lshrrev_b32_e32 v6, 5, v36
	v_add_u32_e32 v38, 0x3c0, v23
	v_and_b32_e32 v52, 0x1fc, v6
	v_lshrrev_b32_e32 v6, 5, v37
	v_and_b32_e32 v53, 0x1fc, v6
	v_lshrrev_b32_e32 v6, 5, v38
	v_and_b32_e32 v54, 0x3fc, v6
	v_and_b32_e32 v6, 0x3c0, v0
	v_add_u16_e32 v10, v8, v6
	v_add_u32_e32 v7, v8, v6
	v_lshrrev_b16_e32 v10, 1, v10
	v_min_u32_e32 v6, 0x1c0, v6
	v_mov_b32_e32 v2, 0
	v_and_b32_e32 v10, 0x3fc, v10
	v_or_b32_e32 v6, 63, v6
	v_mov_b32_e32 v5, v2
	v_lshl_add_u32 v55, v7, 4, v10
	v_and_b32_e32 v7, 15, v8
	v_cmp_eq_u32_e64 s[18:19], v0, v6
	v_cmp_eq_u32_e64 s[22:23], 0, v3
	v_cmp_lt_u32_e64 s[24:25], 1, v3
	v_cmp_lt_u32_e64 s[26:27], 3, v3
	v_add_u32_e32 v3, -1, v8
	v_and_b32_e32 v6, 64, v8
	v_lshrrev_b32_e32 v39, 5, v4
	v_cmp_eq_u32_e64 s[6:7], 0, v7
	v_cmp_lt_u32_e64 s[8:9], 1, v7
	v_cmp_lt_u32_e64 s[10:11], 3, v7
	;; [unrolled: 1-line block ×3, first 2 shown]
	v_and_b32_e32 v7, 16, v8
	v_cmp_lt_i32_e32 vcc, v3, v6
	v_lshl_add_u64 v[4:5], s[30:31], 0, v[4:5]
	s_mul_i32 s2, s2, s33
	v_cmp_eq_u32_e64 s[14:15], 0, v7
	v_cndmask_b32_e32 v3, v3, v8, vcc
	v_lshl_add_u64 v[6:7], s[38:39], 0, v[4:5]
	s_mov_b64 s[30:31], 0x3c0
	s_lshl_b32 s2, s2, 13
	v_mov_b32_e32 v9, v2
	v_cmp_lt_u32_e64 s[16:17], 31, v8
	v_cmp_gt_u32_e64 s[20:21], 8, v0
	v_add_u32_e32 v56, -1, v1
	v_lshlrev_b32_e32 v57, 2, v3
	v_cmp_eq_u32_e64 s[28:29], 0, v0
	v_lshl_add_u64 v[10:11], v[6:7], 0, s[30:31]
	v_lshl_add_u64 v[12:13], s[36:37], 0, v[4:5]
	s_sub_i32 s38, s42, s2
	s_mov_b64 s[2:3], 0x2000
	v_mov_b64_e32 v[14:15], 0x2000
	v_mov_b64_e32 v[16:17], 0x1fff
	s_mov_b32 s39, 0x7060004
	s_mov_b32 s40, 0x7000504
	;; [unrolled: 1-line block ×5, first 2 shown]
	v_mov_b64_e32 v[18:19], 0x2001
	s_branch .LBB1_14
.LBB1_13:                               ;   in Loop: Header=BB1_14 Depth=1
	s_andn2_b64 vcc, exec, s[30:31]
	s_cbranch_vccz .LBB1_98
.LBB1_14:                               ; =>This Inner Loop Header: Depth=1
	v_cmp_gt_i64_e32 vcc, s[44:45], v[16:17]
	s_mov_b64 s[36:37], -1
	v_cmp_gt_u32_e64 s[30:31], s38, v23
	s_cbranch_vccnz .LBB1_33
; %bb.15:                               ;   in Loop: Header=BB1_14 Depth=1
	v_mov_b32_e32 v4, v2
	v_mov_b32_e32 v5, v2
	;; [unrolled: 1-line block ×3, first 2 shown]
	v_mov_b64_e32 v[6:7], v[4:5]
	v_lshl_add_u64 v[20:21], v[12:13], 0, v[8:9]
	v_mov_b64_e32 v[4:5], v[2:3]
	s_and_saveexec_b64 s[36:37], s[30:31]
	s_cbranch_execnz .LBB1_83
; %bb.16:                               ;   in Loop: Header=BB1_14 Depth=1
	s_or_b64 exec, exec, s[36:37]
	v_cmp_gt_u32_e32 vcc, s38, v24
	s_and_saveexec_b64 s[30:31], vcc
	s_cbranch_execnz .LBB1_84
.LBB1_17:                               ;   in Loop: Header=BB1_14 Depth=1
	s_or_b64 exec, exec, s[30:31]
	v_cmp_gt_u32_e32 vcc, s38, v25
	s_and_saveexec_b64 s[30:31], vcc
	s_cbranch_execnz .LBB1_85
.LBB1_18:                               ;   in Loop: Header=BB1_14 Depth=1
	s_or_b64 exec, exec, s[30:31]
	v_cmp_gt_u32_e32 vcc, s38, v26
	s_and_saveexec_b64 s[30:31], vcc
	s_cbranch_execnz .LBB1_86
.LBB1_19:                               ;   in Loop: Header=BB1_14 Depth=1
	s_or_b64 exec, exec, s[30:31]
	v_cmp_gt_u32_e32 vcc, s38, v27
	s_and_saveexec_b64 s[30:31], vcc
	s_cbranch_execnz .LBB1_87
.LBB1_20:                               ;   in Loop: Header=BB1_14 Depth=1
	s_or_b64 exec, exec, s[30:31]
	v_cmp_gt_u32_e32 vcc, s38, v28
	s_and_saveexec_b64 s[30:31], vcc
	s_cbranch_execnz .LBB1_88
.LBB1_21:                               ;   in Loop: Header=BB1_14 Depth=1
	s_or_b64 exec, exec, s[30:31]
	v_cmp_gt_u32_e32 vcc, s38, v29
	s_and_saveexec_b64 s[30:31], vcc
	s_cbranch_execnz .LBB1_89
.LBB1_22:                               ;   in Loop: Header=BB1_14 Depth=1
	s_or_b64 exec, exec, s[30:31]
	v_cmp_gt_u32_e32 vcc, s38, v30
	s_and_saveexec_b64 s[30:31], vcc
	s_cbranch_execnz .LBB1_90
.LBB1_23:                               ;   in Loop: Header=BB1_14 Depth=1
	s_or_b64 exec, exec, s[30:31]
	v_cmp_gt_u32_e32 vcc, s38, v31
	s_and_saveexec_b64 s[30:31], vcc
	s_cbranch_execnz .LBB1_91
.LBB1_24:                               ;   in Loop: Header=BB1_14 Depth=1
	s_or_b64 exec, exec, s[30:31]
	v_cmp_gt_u32_e32 vcc, s38, v32
	s_and_saveexec_b64 s[30:31], vcc
	s_cbranch_execnz .LBB1_92
.LBB1_25:                               ;   in Loop: Header=BB1_14 Depth=1
	s_or_b64 exec, exec, s[30:31]
	v_cmp_gt_u32_e32 vcc, s38, v33
	s_and_saveexec_b64 s[30:31], vcc
	s_cbranch_execnz .LBB1_93
.LBB1_26:                               ;   in Loop: Header=BB1_14 Depth=1
	s_or_b64 exec, exec, s[30:31]
	v_cmp_gt_u32_e32 vcc, s38, v34
	s_and_saveexec_b64 s[30:31], vcc
	s_cbranch_execnz .LBB1_94
.LBB1_27:                               ;   in Loop: Header=BB1_14 Depth=1
	s_or_b64 exec, exec, s[30:31]
	v_cmp_gt_u32_e32 vcc, s38, v35
	s_and_saveexec_b64 s[30:31], vcc
	s_cbranch_execnz .LBB1_95
.LBB1_28:                               ;   in Loop: Header=BB1_14 Depth=1
	s_or_b64 exec, exec, s[30:31]
	v_cmp_gt_u32_e32 vcc, s38, v36
	s_and_saveexec_b64 s[30:31], vcc
	s_cbranch_execnz .LBB1_96
.LBB1_29:                               ;   in Loop: Header=BB1_14 Depth=1
	s_or_b64 exec, exec, s[30:31]
	v_cmp_gt_u32_e32 vcc, s38, v37
	s_and_saveexec_b64 s[30:31], vcc
	s_cbranch_execnz .LBB1_97
.LBB1_30:                               ;   in Loop: Header=BB1_14 Depth=1
	s_or_b64 exec, exec, s[30:31]
	v_cmp_gt_u32_e32 vcc, s38, v38
	s_and_saveexec_b64 s[30:31], vcc
	s_cbranch_execz .LBB1_32
.LBB1_31:                               ;   in Loop: Header=BB1_14 Depth=1
	global_load_ubyte v3, v[20:21], off offset:960
	s_waitcnt vmcnt(0)
	v_perm_b32 v7, v7, v3, s41
.LBB1_32:                               ;   in Loop: Header=BB1_14 Depth=1
	s_or_b64 exec, exec, s[30:31]
	v_add_u32_e32 v3, v39, v23
	ds_write_b8 v3, v4
	v_lshrrev_b32_e32 v3, 8, v4
	v_add_u32_e32 v20, v40, v23
	ds_write_b8 v20, v3 offset:64
	v_add_u32_e32 v3, v41, v23
	ds_write_b8_d16_hi v3, v4 offset:128
	v_lshrrev_b32_e32 v3, 24, v4
	v_add_u32_e32 v4, v42, v23
	ds_write_b8 v4, v3 offset:192
	v_add_u32_e32 v3, v43, v23
	ds_write_b8 v3, v5 offset:256
	v_lshrrev_b32_e32 v3, 8, v5
	v_add_u32_e32 v4, v44, v23
	ds_write_b8 v4, v3 offset:320
	v_add_u32_e32 v3, v45, v23
	ds_write_b8_d16_hi v3, v5 offset:384
	v_lshrrev_b32_e32 v3, 24, v5
	v_add_u32_e32 v4, v46, v23
	ds_write_b8 v4, v3 offset:448
	v_add_u32_e32 v3, v47, v23
	ds_write_b8 v3, v6 offset:512
	;; [unrolled: 10-line block ×3, first 2 shown]
	v_lshrrev_b32_e32 v3, 8, v7
	v_add_u32_e32 v4, v52, v23
	ds_write_b8 v4, v3 offset:832
	v_add_u32_e32 v3, v53, v23
	ds_write_b8_d16_hi v3, v7 offset:896
	v_lshrrev_b32_e32 v3, 24, v7
	v_add_u32_e32 v4, v54, v23
	s_mov_b64 s[36:37], 0
	ds_write_b8 v4, v3 offset:960
	; wave barrier
.LBB1_33:                               ;   in Loop: Header=BB1_14 Depth=1
	s_and_b64 vcc, exec, s[36:37]
	v_add_u32_e32 v3, v39, v23
	v_add_u32_e32 v20, v40, v23
	;; [unrolled: 1-line block ×16, first 2 shown]
	s_cbranch_vccz .LBB1_35
; %bb.34:                               ;   in Loop: Header=BB1_14 Depth=1
	v_lshl_add_u64 v[4:5], v[12:13], 0, v[8:9]
	global_load_ubyte v6, v[4:5], off
	global_load_ubyte v7, v[4:5], off offset:64
	global_load_ubyte v71, v[4:5], off offset:128
	;; [unrolled: 1-line block ×7, first 2 shown]
	s_waitcnt lgkmcnt(0)
	global_load_ubyte v77, v[4:5], off offset:512
	global_load_ubyte v78, v[4:5], off offset:576
	;; [unrolled: 1-line block ×7, first 2 shown]
	s_nop 0
	global_load_ubyte v4, v[4:5], off offset:960
	s_waitcnt vmcnt(15)
	ds_write_b8 v3, v6
	s_waitcnt vmcnt(14)
	ds_write_b8 v20, v7 offset:64
	s_waitcnt vmcnt(13)
	ds_write_b8 v21, v71 offset:128
	;; [unrolled: 2-line block ×15, first 2 shown]
	; wave barrier
.LBB1_35:                               ;   in Loop: Header=BB1_14 Depth=1
	ds_read2_b32 v[6:7], v55 offset1:1
	ds_read2_b32 v[4:5], v55 offset0:2 offset1:3
	s_waitcnt lgkmcnt(0)
	s_barrier
	v_lshrrev_b32_e32 v74, 8, v6
	v_add_u16_e32 v75, v74, v6
	v_add_u16_sdwa v75, v75, v6 dst_sel:DWORD dst_unused:UNUSED_PAD src0_sel:DWORD src1_sel:WORD_1
	v_add_u16_sdwa v75, v75, v6 dst_sel:DWORD dst_unused:UNUSED_PAD src0_sel:DWORD src1_sel:BYTE_3
	v_lshrrev_b32_e32 v73, 8, v7
	v_add_u16_e32 v75, v75, v7
	v_add_u16_e32 v75, v75, v73
	v_add_u16_sdwa v75, v75, v7 dst_sel:DWORD dst_unused:UNUSED_PAD src0_sel:DWORD src1_sel:WORD_1
	v_add_u16_sdwa v75, v75, v7 dst_sel:DWORD dst_unused:UNUSED_PAD src0_sel:DWORD src1_sel:BYTE_3
	v_lshrrev_b32_e32 v72, 8, v4
	v_add_u16_e32 v75, v75, v4
	;; [unrolled: 5-line block ×3, first 2 shown]
	v_add_u16_e32 v75, v75, v71
	v_add_u16_sdwa v75, v75, v5 dst_sel:DWORD dst_unused:UNUSED_PAD src0_sel:DWORD src1_sel:WORD_1
	v_add_u16_sdwa v75, v75, v5 dst_sel:DWORD dst_unused:UNUSED_PAD src0_sel:DWORD src1_sel:BYTE_3
	v_and_b32_e32 v76, 0xff, v75
	s_nop 1
	v_mov_b32_dpp v76, v76 row_shr:1 row_mask:0xf bank_mask:0xf
	v_cndmask_b32_e64 v76, v76, 0, s[6:7]
	v_add_u16_e32 v75, v75, v76
	v_and_b32_e32 v76, 0xff, v75
	s_nop 1
	v_mov_b32_dpp v76, v76 row_shr:2 row_mask:0xf bank_mask:0xf
	v_cndmask_b32_e64 v76, 0, v76, s[8:9]
	v_add_u16_e32 v75, v75, v76
	;; [unrolled: 5-line block ×4, first 2 shown]
	v_and_b32_e32 v76, 0xff, v75
	s_nop 1
	v_mov_b32_dpp v76, v76 row_bcast:15 row_mask:0xf bank_mask:0xf
	v_cndmask_b32_e64 v76, v76, 0, s[14:15]
	v_add_u16_e32 v75, v75, v76
	v_and_b32_e32 v76, 0xff, v75
	s_nop 1
	v_mov_b32_dpp v76, v76 row_bcast:31 row_mask:0xf bank_mask:0xf
	v_cndmask_b32_e64 v76, 0, v76, s[16:17]
	v_add_u16_e32 v75, v75, v76
	s_and_saveexec_b64 s[30:31], s[18:19]
; %bb.36:                               ;   in Loop: Header=BB1_14 Depth=1
	ds_write_b8 v1, v75
; %bb.37:                               ;   in Loop: Header=BB1_14 Depth=1
	s_or_b64 exec, exec, s[30:31]
	s_waitcnt lgkmcnt(0)
	s_barrier
	s_and_saveexec_b64 s[30:31], s[20:21]
	s_cbranch_execz .LBB1_39
; %bb.38:                               ;   in Loop: Header=BB1_14 Depth=1
	ds_read_u8 v76, v0
	s_waitcnt lgkmcnt(0)
	v_and_b32_e32 v77, 0xff, v76
	s_nop 1
	v_mov_b32_dpp v77, v77 row_shr:1 row_mask:0xf bank_mask:0xf
	v_cndmask_b32_e64 v77, v77, 0, s[22:23]
	v_add_u16_e32 v76, v77, v76
	v_and_b32_e32 v77, 0xff, v76
	s_nop 1
	v_mov_b32_dpp v77, v77 row_shr:2 row_mask:0xf bank_mask:0xf
	v_cndmask_b32_e64 v77, 0, v77, s[24:25]
	v_add_u16_e32 v76, v76, v77
	;; [unrolled: 5-line block ×3, first 2 shown]
	ds_write_b8 v0, v76
.LBB1_39:                               ;   in Loop: Header=BB1_14 Depth=1
	s_or_b64 exec, exec, s[30:31]
	s_waitcnt lgkmcnt(0)
	s_barrier
                                        ; implicit-def: $vgpr76
	s_and_saveexec_b64 s[30:31], s[34:35]
	s_cbranch_execz .LBB1_41
; %bb.40:                               ;   in Loop: Header=BB1_14 Depth=1
	ds_read_u8 v76, v56
	s_waitcnt lgkmcnt(0)
	v_add_u16_e32 v75, v76, v75
.LBB1_41:                               ;   in Loop: Header=BB1_14 Depth=1
	s_or_b64 exec, exec, s[30:31]
	v_and_b32_e32 v75, 0xff, v75
	ds_bpermute_b32 v75, v57, v75
	s_and_saveexec_b64 s[30:31], s[4:5]
	s_cbranch_execz .LBB1_45
; %bb.42:                               ;   in Loop: Header=BB1_14 Depth=1
	ds_read_u8 v77, v2 offset:7
	s_and_saveexec_b64 s[36:37], s[28:29]
; %bb.43:                               ;   in Loop: Header=BB1_14 Depth=1
	ds_write_b8 v2, v22 offset:7
; %bb.44:                               ;   in Loop: Header=BB1_14 Depth=1
	s_or_b64 exec, exec, s[36:37]
	s_waitcnt lgkmcnt(0)
	v_add_u16_e32 v22, v77, v22
.LBB1_45:                               ;   in Loop: Header=BB1_14 Depth=1
	s_or_b64 exec, exec, s[30:31]
	s_waitcnt lgkmcnt(0)
	s_barrier
	ds_read_u8 v77, v2 offset:7
	v_cndmask_b32_e64 v75, v75, v76, s[0:1]
	v_cndmask_b32_e64 v75, v75, 0, s[28:29]
	v_add_u16_e32 v75, v75, v6
	v_cmp_lt_i64_e32 vcc, s[44:45], v[14:15]
	s_waitcnt lgkmcnt(0)
	v_add_u16_e32 v75, v75, v77
	v_add_u16_e32 v74, v75, v74
	v_add_u16_sdwa v76, v74, v6 dst_sel:DWORD dst_unused:UNUSED_PAD src0_sel:DWORD src1_sel:WORD_1
	v_add_u16_sdwa v77, v76, v6 dst_sel:DWORD dst_unused:UNUSED_PAD src0_sel:DWORD src1_sel:BYTE_3
	v_add_u16_e32 v6, v77, v7
	v_add_u16_e32 v73, v6, v73
	v_add_u16_sdwa v78, v73, v7 dst_sel:DWORD dst_unused:UNUSED_PAD src0_sel:DWORD src1_sel:WORD_1
	v_add_u16_sdwa v7, v78, v7 dst_sel:DWORD dst_unused:UNUSED_PAD src0_sel:DWORD src1_sel:BYTE_3
	;; [unrolled: 4-line block ×4, first 2 shown]
	s_and_b64 vcc, exec, vcc
	v_perm_b32 v6, v6, v73, s43
	v_perm_b32 v7, v78, v7, s43
	;; [unrolled: 1-line block ×8, first 2 shown]
	v_lshl_add_u64 v[4:5], v[10:11], 0, v[8:9]
	s_barrier
	s_cbranch_vccz .LBB1_68
; %bb.46:                               ;   in Loop: Header=BB1_14 Depth=1
	v_lshl_or_b32 v77, v7, 16, v6
	v_lshl_or_b32 v78, v73, 16, v71
	ds_write2_b32 v55, v78, v77 offset1:1
	v_lshl_or_b32 v77, v74, 16, v72
	v_lshl_or_b32 v78, v76, 16, v75
	ds_write2_b32 v55, v78, v77 offset0:2 offset1:3
	; wave barrier
	ds_read_u8 v92, v3
	ds_read_u8 v91, v20 offset:64
	ds_read_u8 v90, v21 offset:128
	;; [unrolled: 1-line block ×15, first 2 shown]
	v_cmp_gt_u32_e32 vcc, s38, v23
	s_and_saveexec_b64 s[30:31], vcc
	s_cbranch_execnz .LBB1_69
; %bb.47:                               ;   in Loop: Header=BB1_14 Depth=1
	s_or_b64 exec, exec, s[30:31]
	v_cmp_gt_u32_e32 vcc, s38, v24
	s_and_saveexec_b64 s[30:31], vcc
	s_cbranch_execnz .LBB1_70
.LBB1_48:                               ;   in Loop: Header=BB1_14 Depth=1
	s_or_b64 exec, exec, s[30:31]
	v_cmp_gt_u32_e32 vcc, s38, v25
	s_and_saveexec_b64 s[30:31], vcc
	s_cbranch_execnz .LBB1_71
.LBB1_49:                               ;   in Loop: Header=BB1_14 Depth=1
	s_or_b64 exec, exec, s[30:31]
	v_cmp_gt_u32_e32 vcc, s38, v26
	s_and_saveexec_b64 s[30:31], vcc
	s_cbranch_execnz .LBB1_72
.LBB1_50:                               ;   in Loop: Header=BB1_14 Depth=1
	s_or_b64 exec, exec, s[30:31]
	v_cmp_gt_u32_e32 vcc, s38, v27
	s_and_saveexec_b64 s[30:31], vcc
	s_cbranch_execnz .LBB1_73
.LBB1_51:                               ;   in Loop: Header=BB1_14 Depth=1
	s_or_b64 exec, exec, s[30:31]
	v_cmp_gt_u32_e32 vcc, s38, v28
	s_and_saveexec_b64 s[30:31], vcc
	s_cbranch_execnz .LBB1_74
.LBB1_52:                               ;   in Loop: Header=BB1_14 Depth=1
	s_or_b64 exec, exec, s[30:31]
	v_cmp_gt_u32_e32 vcc, s38, v29
	s_and_saveexec_b64 s[30:31], vcc
	s_cbranch_execnz .LBB1_75
.LBB1_53:                               ;   in Loop: Header=BB1_14 Depth=1
	s_or_b64 exec, exec, s[30:31]
	v_cmp_gt_u32_e32 vcc, s38, v30
	s_and_saveexec_b64 s[30:31], vcc
	s_cbranch_execnz .LBB1_76
.LBB1_54:                               ;   in Loop: Header=BB1_14 Depth=1
	s_or_b64 exec, exec, s[30:31]
	v_cmp_gt_u32_e32 vcc, s38, v31
	s_and_saveexec_b64 s[30:31], vcc
	s_cbranch_execnz .LBB1_77
.LBB1_55:                               ;   in Loop: Header=BB1_14 Depth=1
	s_or_b64 exec, exec, s[30:31]
	v_cmp_gt_u32_e32 vcc, s38, v32
	s_and_saveexec_b64 s[30:31], vcc
	s_cbranch_execnz .LBB1_78
.LBB1_56:                               ;   in Loop: Header=BB1_14 Depth=1
	s_or_b64 exec, exec, s[30:31]
	v_cmp_gt_u32_e32 vcc, s38, v33
	s_and_saveexec_b64 s[30:31], vcc
	s_cbranch_execnz .LBB1_79
.LBB1_57:                               ;   in Loop: Header=BB1_14 Depth=1
	s_or_b64 exec, exec, s[30:31]
	v_cmp_gt_u32_e32 vcc, s38, v34
	s_and_saveexec_b64 s[30:31], vcc
	s_cbranch_execnz .LBB1_80
.LBB1_58:                               ;   in Loop: Header=BB1_14 Depth=1
	s_or_b64 exec, exec, s[30:31]
	v_cmp_gt_u32_e32 vcc, s38, v35
	s_and_saveexec_b64 s[30:31], vcc
	s_cbranch_execnz .LBB1_81
.LBB1_59:                               ;   in Loop: Header=BB1_14 Depth=1
	s_or_b64 exec, exec, s[30:31]
	v_cmp_gt_u32_e32 vcc, s38, v36
	s_and_saveexec_b64 s[30:31], vcc
	s_cbranch_execnz .LBB1_82
.LBB1_60:                               ;   in Loop: Header=BB1_14 Depth=1
	s_or_b64 exec, exec, s[30:31]
	v_cmp_gt_u32_e32 vcc, s38, v37
	s_and_saveexec_b64 s[30:31], vcc
	s_cbranch_execz .LBB1_62
.LBB1_61:                               ;   in Loop: Header=BB1_14 Depth=1
	s_waitcnt lgkmcnt(1)
	global_store_byte v[4:5], v78, off offset:-64
.LBB1_62:                               ;   in Loop: Header=BB1_14 Depth=1
	s_or_b64 exec, exec, s[30:31]
	v_cmp_gt_u32_e64 s[30:31], s38, v38
	s_branch .LBB1_64
.LBB1_63:                               ;   in Loop: Header=BB1_14 Depth=1
	v_lshl_or_b32 v6, v7, 16, v6
	v_lshl_or_b32 v7, v73, 16, v71
	ds_write2_b32 v55, v7, v6 offset1:1
	v_lshl_or_b32 v6, v74, 16, v72
	v_lshl_or_b32 v7, v76, 16, v75
	ds_write2_b32 v55, v7, v6 offset0:2 offset1:3
	; wave barrier
	ds_read_u8 v3, v3
	ds_read_u8 v6, v20 offset:64
	ds_read_u8 v7, v21 offset:128
	;; [unrolled: 1-line block ×14, first 2 shown]
	s_waitcnt lgkmcnt(14)
	ds_read_u8 v77, v70 offset:960
	s_or_b64 s[30:31], s[30:31], exec
	global_store_byte v[4:5], v3, off offset:-960
	s_waitcnt lgkmcnt(14)
	global_store_byte v[4:5], v6, off offset:-896
	s_waitcnt lgkmcnt(13)
	global_store_byte v[4:5], v7, off offset:-832
	s_waitcnt lgkmcnt(12)
	global_store_byte v[4:5], v20, off offset:-768
	s_waitcnt lgkmcnt(11)
	global_store_byte v[4:5], v21, off offset:-704
	s_waitcnt lgkmcnt(10)
	global_store_byte v[4:5], v58, off offset:-640
	s_waitcnt lgkmcnt(9)
	global_store_byte v[4:5], v59, off offset:-576
	s_waitcnt lgkmcnt(8)
	global_store_byte v[4:5], v60, off offset:-512
	s_waitcnt lgkmcnt(7)
	global_store_byte v[4:5], v61, off offset:-448
	s_waitcnt lgkmcnt(6)
	global_store_byte v[4:5], v62, off offset:-384
	s_waitcnt lgkmcnt(5)
	global_store_byte v[4:5], v63, off offset:-320
	s_waitcnt lgkmcnt(4)
	global_store_byte v[4:5], v64, off offset:-256
	s_waitcnt lgkmcnt(3)
	global_store_byte v[4:5], v65, off offset:-192
	s_waitcnt lgkmcnt(2)
	global_store_byte v[4:5], v66, off offset:-128
	s_waitcnt lgkmcnt(1)
	global_store_byte v[4:5], v67, off offset:-64
.LBB1_64:                               ;   in Loop: Header=BB1_14 Depth=1
	s_and_saveexec_b64 s[36:37], s[30:31]
	s_cbranch_execz .LBB1_66
; %bb.65:                               ;   in Loop: Header=BB1_14 Depth=1
	s_waitcnt lgkmcnt(0)
	global_store_byte v[4:5], v77, off
.LBB1_66:                               ;   in Loop: Header=BB1_14 Depth=1
	s_or_b64 exec, exec, s[36:37]
	v_cmp_lt_i64_e32 vcc, s[44:45], v[18:19]
	s_mov_b64 s[30:31], -1
	s_cbranch_vccnz .LBB1_13
; %bb.67:                               ;   in Loop: Header=BB1_14 Depth=1
	s_add_u32 s44, s44, 0xffffe000
	s_addc_u32 s45, s45, -1
	s_add_i32 s33, s33, -1
	s_addk_i32 s38, 0xe000
	s_cmp_eq_u32 s33, 0
	v_lshl_add_u64 v[10:11], v[10:11], 0, s[2:3]
	v_lshl_add_u64 v[12:13], v[12:13], 0, s[2:3]
	s_cselect_b64 s[30:31], -1, 0
	s_waitcnt lgkmcnt(0)
	s_barrier
	s_branch .LBB1_13
.LBB1_68:                               ;   in Loop: Header=BB1_14 Depth=1
	s_mov_b64 s[30:31], 0
                                        ; implicit-def: $vgpr77
	s_cbranch_execnz .LBB1_63
	s_branch .LBB1_64
.LBB1_69:                               ;   in Loop: Header=BB1_14 Depth=1
	s_waitcnt lgkmcnt(14)
	global_store_byte v[4:5], v92, off offset:-960
	s_or_b64 exec, exec, s[30:31]
	v_cmp_gt_u32_e32 vcc, s38, v24
	s_and_saveexec_b64 s[30:31], vcc
	s_cbranch_execz .LBB1_48
.LBB1_70:                               ;   in Loop: Header=BB1_14 Depth=1
	s_waitcnt lgkmcnt(14)
	global_store_byte v[4:5], v91, off offset:-896
	s_or_b64 exec, exec, s[30:31]
	v_cmp_gt_u32_e32 vcc, s38, v25
	s_and_saveexec_b64 s[30:31], vcc
	s_cbranch_execz .LBB1_49
.LBB1_71:                               ;   in Loop: Header=BB1_14 Depth=1
	s_waitcnt lgkmcnt(13)
	global_store_byte v[4:5], v90, off offset:-832
	s_or_b64 exec, exec, s[30:31]
	v_cmp_gt_u32_e32 vcc, s38, v26
	s_and_saveexec_b64 s[30:31], vcc
	s_cbranch_execz .LBB1_50
.LBB1_72:                               ;   in Loop: Header=BB1_14 Depth=1
	s_waitcnt lgkmcnt(12)
	global_store_byte v[4:5], v89, off offset:-768
	s_or_b64 exec, exec, s[30:31]
	v_cmp_gt_u32_e32 vcc, s38, v27
	s_and_saveexec_b64 s[30:31], vcc
	s_cbranch_execz .LBB1_51
.LBB1_73:                               ;   in Loop: Header=BB1_14 Depth=1
	s_waitcnt lgkmcnt(11)
	global_store_byte v[4:5], v88, off offset:-704
	s_or_b64 exec, exec, s[30:31]
	v_cmp_gt_u32_e32 vcc, s38, v28
	s_and_saveexec_b64 s[30:31], vcc
	s_cbranch_execz .LBB1_52
.LBB1_74:                               ;   in Loop: Header=BB1_14 Depth=1
	s_waitcnt lgkmcnt(10)
	global_store_byte v[4:5], v87, off offset:-640
	s_or_b64 exec, exec, s[30:31]
	v_cmp_gt_u32_e32 vcc, s38, v29
	s_and_saveexec_b64 s[30:31], vcc
	s_cbranch_execz .LBB1_53
.LBB1_75:                               ;   in Loop: Header=BB1_14 Depth=1
	s_waitcnt lgkmcnt(9)
	global_store_byte v[4:5], v86, off offset:-576
	s_or_b64 exec, exec, s[30:31]
	v_cmp_gt_u32_e32 vcc, s38, v30
	s_and_saveexec_b64 s[30:31], vcc
	s_cbranch_execz .LBB1_54
.LBB1_76:                               ;   in Loop: Header=BB1_14 Depth=1
	s_waitcnt lgkmcnt(8)
	global_store_byte v[4:5], v85, off offset:-512
	s_or_b64 exec, exec, s[30:31]
	v_cmp_gt_u32_e32 vcc, s38, v31
	s_and_saveexec_b64 s[30:31], vcc
	s_cbranch_execz .LBB1_55
.LBB1_77:                               ;   in Loop: Header=BB1_14 Depth=1
	s_waitcnt lgkmcnt(7)
	global_store_byte v[4:5], v84, off offset:-448
	s_or_b64 exec, exec, s[30:31]
	v_cmp_gt_u32_e32 vcc, s38, v32
	s_and_saveexec_b64 s[30:31], vcc
	s_cbranch_execz .LBB1_56
.LBB1_78:                               ;   in Loop: Header=BB1_14 Depth=1
	s_waitcnt lgkmcnt(6)
	global_store_byte v[4:5], v83, off offset:-384
	s_or_b64 exec, exec, s[30:31]
	v_cmp_gt_u32_e32 vcc, s38, v33
	s_and_saveexec_b64 s[30:31], vcc
	s_cbranch_execz .LBB1_57
.LBB1_79:                               ;   in Loop: Header=BB1_14 Depth=1
	s_waitcnt lgkmcnt(5)
	global_store_byte v[4:5], v82, off offset:-320
	s_or_b64 exec, exec, s[30:31]
	v_cmp_gt_u32_e32 vcc, s38, v34
	s_and_saveexec_b64 s[30:31], vcc
	s_cbranch_execz .LBB1_58
.LBB1_80:                               ;   in Loop: Header=BB1_14 Depth=1
	s_waitcnt lgkmcnt(4)
	global_store_byte v[4:5], v81, off offset:-256
	s_or_b64 exec, exec, s[30:31]
	v_cmp_gt_u32_e32 vcc, s38, v35
	s_and_saveexec_b64 s[30:31], vcc
	s_cbranch_execz .LBB1_59
.LBB1_81:                               ;   in Loop: Header=BB1_14 Depth=1
	s_waitcnt lgkmcnt(3)
	global_store_byte v[4:5], v80, off offset:-192
	s_or_b64 exec, exec, s[30:31]
	v_cmp_gt_u32_e32 vcc, s38, v36
	s_and_saveexec_b64 s[30:31], vcc
	s_cbranch_execz .LBB1_60
.LBB1_82:                               ;   in Loop: Header=BB1_14 Depth=1
	s_waitcnt lgkmcnt(2)
	global_store_byte v[4:5], v79, off offset:-128
	s_or_b64 exec, exec, s[30:31]
	v_cmp_gt_u32_e32 vcc, s38, v37
	s_and_saveexec_b64 s[30:31], vcc
	s_cbranch_execnz .LBB1_61
	s_branch .LBB1_62
.LBB1_83:                               ;   in Loop: Header=BB1_14 Depth=1
	global_load_ubyte v3, v[20:21], off
	v_mov_b32_e32 v5, v2
	v_mov_b32_e32 v6, v2
	v_mov_b32_e32 v7, v2
	s_waitcnt vmcnt(0)
	v_and_b32_e32 v4, 0xffff, v3
	s_or_b64 exec, exec, s[36:37]
	v_cmp_gt_u32_e32 vcc, s38, v24
	s_and_saveexec_b64 s[30:31], vcc
	s_cbranch_execz .LBB1_17
.LBB1_84:                               ;   in Loop: Header=BB1_14 Depth=1
	global_load_ubyte v3, v[20:21], off offset:64
	s_waitcnt vmcnt(0)
	v_perm_b32 v4, v4, v3, s39
	s_or_b64 exec, exec, s[30:31]
	v_cmp_gt_u32_e32 vcc, s38, v25
	s_and_saveexec_b64 s[30:31], vcc
	s_cbranch_execz .LBB1_18
.LBB1_85:                               ;   in Loop: Header=BB1_14 Depth=1
	global_load_ubyte v3, v[20:21], off offset:128
	s_waitcnt vmcnt(0)
	v_perm_b32 v4, v4, v3, s40
	s_or_b64 exec, exec, s[30:31]
	v_cmp_gt_u32_e32 vcc, s38, v26
	s_and_saveexec_b64 s[30:31], vcc
	s_cbranch_execz .LBB1_19
.LBB1_86:                               ;   in Loop: Header=BB1_14 Depth=1
	global_load_ubyte v3, v[20:21], off offset:192
	s_waitcnt vmcnt(0)
	v_perm_b32 v4, v4, v3, s41
	s_or_b64 exec, exec, s[30:31]
	v_cmp_gt_u32_e32 vcc, s38, v27
	s_and_saveexec_b64 s[30:31], vcc
	s_cbranch_execz .LBB1_20
.LBB1_87:                               ;   in Loop: Header=BB1_14 Depth=1
	global_load_ubyte v3, v[20:21], off offset:256
	s_waitcnt vmcnt(0)
	v_perm_b32 v5, v3, v5, s42
	s_or_b64 exec, exec, s[30:31]
	v_cmp_gt_u32_e32 vcc, s38, v28
	s_and_saveexec_b64 s[30:31], vcc
	s_cbranch_execz .LBB1_21
.LBB1_88:                               ;   in Loop: Header=BB1_14 Depth=1
	global_load_ubyte v3, v[20:21], off offset:320
	s_waitcnt vmcnt(0)
	v_perm_b32 v5, v5, v3, s39
	s_or_b64 exec, exec, s[30:31]
	v_cmp_gt_u32_e32 vcc, s38, v29
	s_and_saveexec_b64 s[30:31], vcc
	s_cbranch_execz .LBB1_22
.LBB1_89:                               ;   in Loop: Header=BB1_14 Depth=1
	global_load_ubyte v3, v[20:21], off offset:384
	s_waitcnt vmcnt(0)
	v_perm_b32 v5, v5, v3, s40
	s_or_b64 exec, exec, s[30:31]
	v_cmp_gt_u32_e32 vcc, s38, v30
	s_and_saveexec_b64 s[30:31], vcc
	s_cbranch_execz .LBB1_23
.LBB1_90:                               ;   in Loop: Header=BB1_14 Depth=1
	global_load_ubyte v3, v[20:21], off offset:448
	s_waitcnt vmcnt(0)
	v_perm_b32 v5, v5, v3, s41
	s_or_b64 exec, exec, s[30:31]
	v_cmp_gt_u32_e32 vcc, s38, v31
	s_and_saveexec_b64 s[30:31], vcc
	s_cbranch_execz .LBB1_24
.LBB1_91:                               ;   in Loop: Header=BB1_14 Depth=1
	global_load_ubyte v3, v[20:21], off offset:512
	s_waitcnt vmcnt(0)
	v_perm_b32 v6, v3, v6, s42
	s_or_b64 exec, exec, s[30:31]
	v_cmp_gt_u32_e32 vcc, s38, v32
	s_and_saveexec_b64 s[30:31], vcc
	s_cbranch_execz .LBB1_25
.LBB1_92:                               ;   in Loop: Header=BB1_14 Depth=1
	global_load_ubyte v3, v[20:21], off offset:576
	s_waitcnt vmcnt(0)
	v_perm_b32 v6, v6, v3, s39
	s_or_b64 exec, exec, s[30:31]
	v_cmp_gt_u32_e32 vcc, s38, v33
	s_and_saveexec_b64 s[30:31], vcc
	s_cbranch_execz .LBB1_26
.LBB1_93:                               ;   in Loop: Header=BB1_14 Depth=1
	global_load_ubyte v3, v[20:21], off offset:640
	s_waitcnt vmcnt(0)
	v_perm_b32 v6, v6, v3, s40
	s_or_b64 exec, exec, s[30:31]
	v_cmp_gt_u32_e32 vcc, s38, v34
	s_and_saveexec_b64 s[30:31], vcc
	s_cbranch_execz .LBB1_27
.LBB1_94:                               ;   in Loop: Header=BB1_14 Depth=1
	global_load_ubyte v3, v[20:21], off offset:704
	s_waitcnt vmcnt(0)
	v_perm_b32 v6, v6, v3, s41
	s_or_b64 exec, exec, s[30:31]
	v_cmp_gt_u32_e32 vcc, s38, v35
	s_and_saveexec_b64 s[30:31], vcc
	s_cbranch_execz .LBB1_28
.LBB1_95:                               ;   in Loop: Header=BB1_14 Depth=1
	global_load_ubyte v3, v[20:21], off offset:768
	s_waitcnt vmcnt(0)
	v_perm_b32 v7, v3, v7, s42
	s_or_b64 exec, exec, s[30:31]
	v_cmp_gt_u32_e32 vcc, s38, v36
	s_and_saveexec_b64 s[30:31], vcc
	s_cbranch_execz .LBB1_29
.LBB1_96:                               ;   in Loop: Header=BB1_14 Depth=1
	global_load_ubyte v3, v[20:21], off offset:832
	s_waitcnt vmcnt(0)
	v_perm_b32 v7, v7, v3, s39
	s_or_b64 exec, exec, s[30:31]
	v_cmp_gt_u32_e32 vcc, s38, v37
	s_and_saveexec_b64 s[30:31], vcc
	s_cbranch_execz .LBB1_30
.LBB1_97:                               ;   in Loop: Header=BB1_14 Depth=1
	global_load_ubyte v3, v[20:21], off offset:896
	s_waitcnt vmcnt(0)
	v_perm_b32 v7, v7, v3, s40
	s_or_b64 exec, exec, s[30:31]
	v_cmp_gt_u32_e32 vcc, s38, v38
	s_and_saveexec_b64 s[30:31], vcc
	s_cbranch_execnz .LBB1_31
	s_branch .LBB1_32
.LBB1_98:
	s_endpgm
	.section	.rodata,"a",@progbits
	.p2align	6, 0x0
	.amdhsa_kernel _ZN2at4cuda3cub17final_scan_kernelILi512ELi16EhEEvPKT1_PS3_S6_li
		.amdhsa_group_segment_fixed_size 8448
		.amdhsa_private_segment_fixed_size 0
		.amdhsa_kernarg_size 296
		.amdhsa_user_sgpr_count 2
		.amdhsa_user_sgpr_dispatch_ptr 0
		.amdhsa_user_sgpr_queue_ptr 0
		.amdhsa_user_sgpr_kernarg_segment_ptr 1
		.amdhsa_user_sgpr_dispatch_id 0
		.amdhsa_user_sgpr_kernarg_preload_length 0
		.amdhsa_user_sgpr_kernarg_preload_offset 0
		.amdhsa_user_sgpr_private_segment_size 0
		.amdhsa_uses_dynamic_stack 0
		.amdhsa_enable_private_segment 0
		.amdhsa_system_sgpr_workgroup_id_x 1
		.amdhsa_system_sgpr_workgroup_id_y 0
		.amdhsa_system_sgpr_workgroup_id_z 0
		.amdhsa_system_sgpr_workgroup_info 0
		.amdhsa_system_vgpr_workitem_id 0
		.amdhsa_next_free_vgpr 93
		.amdhsa_next_free_sgpr 46
		.amdhsa_accum_offset 96
		.amdhsa_reserve_vcc 1
		.amdhsa_float_round_mode_32 0
		.amdhsa_float_round_mode_16_64 0
		.amdhsa_float_denorm_mode_32 3
		.amdhsa_float_denorm_mode_16_64 3
		.amdhsa_dx10_clamp 1
		.amdhsa_ieee_mode 1
		.amdhsa_fp16_overflow 0
		.amdhsa_tg_split 0
		.amdhsa_exception_fp_ieee_invalid_op 0
		.amdhsa_exception_fp_denorm_src 0
		.amdhsa_exception_fp_ieee_div_zero 0
		.amdhsa_exception_fp_ieee_overflow 0
		.amdhsa_exception_fp_ieee_underflow 0
		.amdhsa_exception_fp_ieee_inexact 0
		.amdhsa_exception_int_div_zero 0
	.end_amdhsa_kernel
	.section	.text._ZN2at4cuda3cub17final_scan_kernelILi512ELi16EhEEvPKT1_PS3_S6_li,"axG",@progbits,_ZN2at4cuda3cub17final_scan_kernelILi512ELi16EhEEvPKT1_PS3_S6_li,comdat
.Lfunc_end1:
	.size	_ZN2at4cuda3cub17final_scan_kernelILi512ELi16EhEEvPKT1_PS3_S6_li, .Lfunc_end1-_ZN2at4cuda3cub17final_scan_kernelILi512ELi16EhEEvPKT1_PS3_S6_li
                                        ; -- End function
	.set _ZN2at4cuda3cub17final_scan_kernelILi512ELi16EhEEvPKT1_PS3_S6_li.num_vgpr, 93
	.set _ZN2at4cuda3cub17final_scan_kernelILi512ELi16EhEEvPKT1_PS3_S6_li.num_agpr, 0
	.set _ZN2at4cuda3cub17final_scan_kernelILi512ELi16EhEEvPKT1_PS3_S6_li.numbered_sgpr, 46
	.set _ZN2at4cuda3cub17final_scan_kernelILi512ELi16EhEEvPKT1_PS3_S6_li.num_named_barrier, 0
	.set _ZN2at4cuda3cub17final_scan_kernelILi512ELi16EhEEvPKT1_PS3_S6_li.private_seg_size, 0
	.set _ZN2at4cuda3cub17final_scan_kernelILi512ELi16EhEEvPKT1_PS3_S6_li.uses_vcc, 1
	.set _ZN2at4cuda3cub17final_scan_kernelILi512ELi16EhEEvPKT1_PS3_S6_li.uses_flat_scratch, 0
	.set _ZN2at4cuda3cub17final_scan_kernelILi512ELi16EhEEvPKT1_PS3_S6_li.has_dyn_sized_stack, 0
	.set _ZN2at4cuda3cub17final_scan_kernelILi512ELi16EhEEvPKT1_PS3_S6_li.has_recursion, 0
	.set _ZN2at4cuda3cub17final_scan_kernelILi512ELi16EhEEvPKT1_PS3_S6_li.has_indirect_call, 0
	.section	.AMDGPU.csdata,"",@progbits
; Kernel info:
; codeLenInByte = 4832
; TotalNumSgprs: 52
; NumVgprs: 93
; NumAgprs: 0
; TotalNumVgprs: 93
; ScratchSize: 0
; MemoryBound: 0
; FloatMode: 240
; IeeeMode: 1
; LDSByteSize: 8448 bytes/workgroup (compile time only)
; SGPRBlocks: 6
; VGPRBlocks: 11
; NumSGPRsForWavesPerEU: 52
; NumVGPRsForWavesPerEU: 93
; AccumOffset: 96
; Occupancy: 5
; WaveLimiterHint : 0
; COMPUTE_PGM_RSRC2:SCRATCH_EN: 0
; COMPUTE_PGM_RSRC2:USER_SGPR: 2
; COMPUTE_PGM_RSRC2:TRAP_HANDLER: 0
; COMPUTE_PGM_RSRC2:TGID_X_EN: 1
; COMPUTE_PGM_RSRC2:TGID_Y_EN: 0
; COMPUTE_PGM_RSRC2:TGID_Z_EN: 0
; COMPUTE_PGM_RSRC2:TIDIG_COMP_CNT: 0
; COMPUTE_PGM_RSRC3_GFX90A:ACCUM_OFFSET: 23
; COMPUTE_PGM_RSRC3_GFX90A:TG_SPLIT: 0
	.section	.text._ZN7rocprim17ROCPRIM_304000_NS6detail31init_lookback_scan_state_kernelINS1_19lookback_scan_stateIhLb1ELb1EEEEEvT_jjPNS5_10value_typeE,"axG",@progbits,_ZN7rocprim17ROCPRIM_304000_NS6detail31init_lookback_scan_state_kernelINS1_19lookback_scan_stateIhLb1ELb1EEEEEvT_jjPNS5_10value_typeE,comdat
	.protected	_ZN7rocprim17ROCPRIM_304000_NS6detail31init_lookback_scan_state_kernelINS1_19lookback_scan_stateIhLb1ELb1EEEEEvT_jjPNS5_10value_typeE ; -- Begin function _ZN7rocprim17ROCPRIM_304000_NS6detail31init_lookback_scan_state_kernelINS1_19lookback_scan_stateIhLb1ELb1EEEEEvT_jjPNS5_10value_typeE
	.globl	_ZN7rocprim17ROCPRIM_304000_NS6detail31init_lookback_scan_state_kernelINS1_19lookback_scan_stateIhLb1ELb1EEEEEvT_jjPNS5_10value_typeE
	.p2align	8
	.type	_ZN7rocprim17ROCPRIM_304000_NS6detail31init_lookback_scan_state_kernelINS1_19lookback_scan_stateIhLb1ELb1EEEEEvT_jjPNS5_10value_typeE,@function
_ZN7rocprim17ROCPRIM_304000_NS6detail31init_lookback_scan_state_kernelINS1_19lookback_scan_stateIhLb1ELb1EEEEEvT_jjPNS5_10value_typeE: ; @_ZN7rocprim17ROCPRIM_304000_NS6detail31init_lookback_scan_state_kernelINS1_19lookback_scan_stateIhLb1ELb1EEEEEvT_jjPNS5_10value_typeE
; %bb.0:
	s_load_dword s3, s[0:1], 0x24
	s_load_dwordx2 s[8:9], s[0:1], 0x10
	s_load_dwordx4 s[4:7], s[0:1], 0x0
	s_waitcnt lgkmcnt(0)
	s_and_b32 s0, s3, 0xffff
	s_mul_i32 s2, s2, s0
	s_cmp_eq_u64 s[8:9], 0
	v_add_u32_e32 v0, s2, v0
	s_cbranch_scc1 .LBB2_8
; %bb.1:
	s_cmp_lt_u32 s7, s6
	s_cselect_b32 s0, s7, 0
	s_mov_b32 s3, 0
	v_cmp_eq_u32_e32 vcc, s0, v0
	s_and_saveexec_b64 s[0:1], vcc
	s_cbranch_execz .LBB2_7
; %bb.2:
	s_add_i32 s2, s7, 64
	s_lshl_b64 s[2:3], s[2:3], 1
	s_add_u32 s2, s4, s2
	s_addc_u32 s3, s5, s3
	v_mov_b32_e32 v1, 0
	global_load_ushort v2, v1, s[2:3] sc1
	s_movk_i32 s7, 0xff
	s_waitcnt vmcnt(0)
	v_cmp_gt_u32_sdwa s[10:11], v2, s7 src0_sel:WORD_0 src1_sel:DWORD
	s_and_b64 vcc, exec, s[10:11]
	s_mov_b32 s10, 1
	s_cbranch_vccnz .LBB2_6
.LBB2_3:                                ; =>This Loop Header: Depth=1
                                        ;     Child Loop BB2_4 Depth 2
	s_mov_b32 s11, s10
.LBB2_4:                                ;   Parent Loop BB2_3 Depth=1
                                        ; =>  This Inner Loop Header: Depth=2
	s_add_i32 s11, s11, -1
	s_cmp_eq_u32 s11, 0
	s_sleep 1
	s_cbranch_scc0 .LBB2_4
; %bb.5:                                ;   in Loop: Header=BB2_3 Depth=1
	global_load_ushort v2, v1, s[2:3] sc1
	s_cmp_lt_u32 s10, 32
	s_cselect_b64 s[12:13], -1, 0
	s_cmp_lg_u64 s[12:13], 0
	s_addc_u32 s10, s10, 0
	s_waitcnt vmcnt(0)
	v_cmp_gt_u32_sdwa s[12:13], v2, s7 src0_sel:WORD_0 src1_sel:DWORD
	s_and_b64 vcc, exec, s[12:13]
	s_cbranch_vccz .LBB2_3
.LBB2_6:
	v_mov_b32_e32 v1, 0
	global_store_byte v1, v2, s[8:9]
.LBB2_7:
	s_or_b64 exec, exec, s[0:1]
.LBB2_8:
	v_cmp_gt_u32_e32 vcc, s6, v0
	s_and_saveexec_b64 s[0:1], vcc
	s_cbranch_execnz .LBB2_11
; %bb.9:
	s_or_b64 exec, exec, s[0:1]
	v_cmp_gt_u32_e32 vcc, 64, v0
	s_and_saveexec_b64 s[0:1], vcc
	s_cbranch_execnz .LBB2_12
.LBB2_10:
	s_endpgm
.LBB2_11:
	v_add_u32_e32 v2, 64, v0
	v_mov_b32_e32 v3, 0
	v_lshl_add_u64 v[4:5], v[2:3], 1, s[4:5]
	global_store_short v[4:5], v3, off
	s_or_b64 exec, exec, s[0:1]
	v_cmp_gt_u32_e32 vcc, 64, v0
	s_and_saveexec_b64 s[0:1], vcc
	s_cbranch_execz .LBB2_10
.LBB2_12:
	v_mov_b32_e32 v1, 0
	v_lshl_add_u64 v[0:1], v[0:1], 1, s[4:5]
	v_mov_b32_e32 v2, 0xffffff00
	global_store_short v[0:1], v2, off
	s_endpgm
	.section	.rodata,"a",@progbits
	.p2align	6, 0x0
	.amdhsa_kernel _ZN7rocprim17ROCPRIM_304000_NS6detail31init_lookback_scan_state_kernelINS1_19lookback_scan_stateIhLb1ELb1EEEEEvT_jjPNS5_10value_typeE
		.amdhsa_group_segment_fixed_size 0
		.amdhsa_private_segment_fixed_size 0
		.amdhsa_kernarg_size 280
		.amdhsa_user_sgpr_count 2
		.amdhsa_user_sgpr_dispatch_ptr 0
		.amdhsa_user_sgpr_queue_ptr 0
		.amdhsa_user_sgpr_kernarg_segment_ptr 1
		.amdhsa_user_sgpr_dispatch_id 0
		.amdhsa_user_sgpr_kernarg_preload_length 0
		.amdhsa_user_sgpr_kernarg_preload_offset 0
		.amdhsa_user_sgpr_private_segment_size 0
		.amdhsa_uses_dynamic_stack 0
		.amdhsa_enable_private_segment 0
		.amdhsa_system_sgpr_workgroup_id_x 1
		.amdhsa_system_sgpr_workgroup_id_y 0
		.amdhsa_system_sgpr_workgroup_id_z 0
		.amdhsa_system_sgpr_workgroup_info 0
		.amdhsa_system_vgpr_workitem_id 0
		.amdhsa_next_free_vgpr 6
		.amdhsa_next_free_sgpr 14
		.amdhsa_accum_offset 8
		.amdhsa_reserve_vcc 1
		.amdhsa_float_round_mode_32 0
		.amdhsa_float_round_mode_16_64 0
		.amdhsa_float_denorm_mode_32 3
		.amdhsa_float_denorm_mode_16_64 3
		.amdhsa_dx10_clamp 1
		.amdhsa_ieee_mode 1
		.amdhsa_fp16_overflow 0
		.amdhsa_tg_split 0
		.amdhsa_exception_fp_ieee_invalid_op 0
		.amdhsa_exception_fp_denorm_src 0
		.amdhsa_exception_fp_ieee_div_zero 0
		.amdhsa_exception_fp_ieee_overflow 0
		.amdhsa_exception_fp_ieee_underflow 0
		.amdhsa_exception_fp_ieee_inexact 0
		.amdhsa_exception_int_div_zero 0
	.end_amdhsa_kernel
	.section	.text._ZN7rocprim17ROCPRIM_304000_NS6detail31init_lookback_scan_state_kernelINS1_19lookback_scan_stateIhLb1ELb1EEEEEvT_jjPNS5_10value_typeE,"axG",@progbits,_ZN7rocprim17ROCPRIM_304000_NS6detail31init_lookback_scan_state_kernelINS1_19lookback_scan_stateIhLb1ELb1EEEEEvT_jjPNS5_10value_typeE,comdat
.Lfunc_end2:
	.size	_ZN7rocprim17ROCPRIM_304000_NS6detail31init_lookback_scan_state_kernelINS1_19lookback_scan_stateIhLb1ELb1EEEEEvT_jjPNS5_10value_typeE, .Lfunc_end2-_ZN7rocprim17ROCPRIM_304000_NS6detail31init_lookback_scan_state_kernelINS1_19lookback_scan_stateIhLb1ELb1EEEEEvT_jjPNS5_10value_typeE
                                        ; -- End function
	.set _ZN7rocprim17ROCPRIM_304000_NS6detail31init_lookback_scan_state_kernelINS1_19lookback_scan_stateIhLb1ELb1EEEEEvT_jjPNS5_10value_typeE.num_vgpr, 6
	.set _ZN7rocprim17ROCPRIM_304000_NS6detail31init_lookback_scan_state_kernelINS1_19lookback_scan_stateIhLb1ELb1EEEEEvT_jjPNS5_10value_typeE.num_agpr, 0
	.set _ZN7rocprim17ROCPRIM_304000_NS6detail31init_lookback_scan_state_kernelINS1_19lookback_scan_stateIhLb1ELb1EEEEEvT_jjPNS5_10value_typeE.numbered_sgpr, 14
	.set _ZN7rocprim17ROCPRIM_304000_NS6detail31init_lookback_scan_state_kernelINS1_19lookback_scan_stateIhLb1ELb1EEEEEvT_jjPNS5_10value_typeE.num_named_barrier, 0
	.set _ZN7rocprim17ROCPRIM_304000_NS6detail31init_lookback_scan_state_kernelINS1_19lookback_scan_stateIhLb1ELb1EEEEEvT_jjPNS5_10value_typeE.private_seg_size, 0
	.set _ZN7rocprim17ROCPRIM_304000_NS6detail31init_lookback_scan_state_kernelINS1_19lookback_scan_stateIhLb1ELb1EEEEEvT_jjPNS5_10value_typeE.uses_vcc, 1
	.set _ZN7rocprim17ROCPRIM_304000_NS6detail31init_lookback_scan_state_kernelINS1_19lookback_scan_stateIhLb1ELb1EEEEEvT_jjPNS5_10value_typeE.uses_flat_scratch, 0
	.set _ZN7rocprim17ROCPRIM_304000_NS6detail31init_lookback_scan_state_kernelINS1_19lookback_scan_stateIhLb1ELb1EEEEEvT_jjPNS5_10value_typeE.has_dyn_sized_stack, 0
	.set _ZN7rocprim17ROCPRIM_304000_NS6detail31init_lookback_scan_state_kernelINS1_19lookback_scan_stateIhLb1ELb1EEEEEvT_jjPNS5_10value_typeE.has_recursion, 0
	.set _ZN7rocprim17ROCPRIM_304000_NS6detail31init_lookback_scan_state_kernelINS1_19lookback_scan_stateIhLb1ELb1EEEEEvT_jjPNS5_10value_typeE.has_indirect_call, 0
	.section	.AMDGPU.csdata,"",@progbits
; Kernel info:
; codeLenInByte = 316
; TotalNumSgprs: 20
; NumVgprs: 6
; NumAgprs: 0
; TotalNumVgprs: 6
; ScratchSize: 0
; MemoryBound: 0
; FloatMode: 240
; IeeeMode: 1
; LDSByteSize: 0 bytes/workgroup (compile time only)
; SGPRBlocks: 2
; VGPRBlocks: 0
; NumSGPRsForWavesPerEU: 20
; NumVGPRsForWavesPerEU: 6
; AccumOffset: 8
; Occupancy: 8
; WaveLimiterHint : 0
; COMPUTE_PGM_RSRC2:SCRATCH_EN: 0
; COMPUTE_PGM_RSRC2:USER_SGPR: 2
; COMPUTE_PGM_RSRC2:TRAP_HANDLER: 0
; COMPUTE_PGM_RSRC2:TGID_X_EN: 1
; COMPUTE_PGM_RSRC2:TGID_Y_EN: 0
; COMPUTE_PGM_RSRC2:TGID_Z_EN: 0
; COMPUTE_PGM_RSRC2:TIDIG_COMP_CNT: 0
; COMPUTE_PGM_RSRC3_GFX90A:ACCUM_OFFSET: 1
; COMPUTE_PGM_RSRC3_GFX90A:TG_SPLIT: 0
	.section	.text._ZN7rocprim17ROCPRIM_304000_NS6detail31init_lookback_scan_state_kernelINS1_19lookback_scan_stateIhLb0ELb1EEEEEvT_jjPNS5_10value_typeE,"axG",@progbits,_ZN7rocprim17ROCPRIM_304000_NS6detail31init_lookback_scan_state_kernelINS1_19lookback_scan_stateIhLb0ELb1EEEEEvT_jjPNS5_10value_typeE,comdat
	.protected	_ZN7rocprim17ROCPRIM_304000_NS6detail31init_lookback_scan_state_kernelINS1_19lookback_scan_stateIhLb0ELb1EEEEEvT_jjPNS5_10value_typeE ; -- Begin function _ZN7rocprim17ROCPRIM_304000_NS6detail31init_lookback_scan_state_kernelINS1_19lookback_scan_stateIhLb0ELb1EEEEEvT_jjPNS5_10value_typeE
	.globl	_ZN7rocprim17ROCPRIM_304000_NS6detail31init_lookback_scan_state_kernelINS1_19lookback_scan_stateIhLb0ELb1EEEEEvT_jjPNS5_10value_typeE
	.p2align	8
	.type	_ZN7rocprim17ROCPRIM_304000_NS6detail31init_lookback_scan_state_kernelINS1_19lookback_scan_stateIhLb0ELb1EEEEEvT_jjPNS5_10value_typeE,@function
_ZN7rocprim17ROCPRIM_304000_NS6detail31init_lookback_scan_state_kernelINS1_19lookback_scan_stateIhLb0ELb1EEEEEvT_jjPNS5_10value_typeE: ; @_ZN7rocprim17ROCPRIM_304000_NS6detail31init_lookback_scan_state_kernelINS1_19lookback_scan_stateIhLb0ELb1EEEEEvT_jjPNS5_10value_typeE
; %bb.0:
	s_load_dword s3, s[0:1], 0x24
	s_load_dwordx2 s[8:9], s[0:1], 0x10
	s_load_dwordx4 s[4:7], s[0:1], 0x0
	s_waitcnt lgkmcnt(0)
	s_and_b32 s0, s3, 0xffff
	s_mul_i32 s2, s2, s0
	s_cmp_eq_u64 s[8:9], 0
	v_add_u32_e32 v0, s2, v0
	s_cbranch_scc1 .LBB3_7
; %bb.1:
	s_cmp_lt_u32 s7, s6
	s_cselect_b32 s0, s7, 0
	s_mov_b32 s3, 0
	v_cmp_eq_u32_e32 vcc, s0, v0
	s_and_saveexec_b64 s[0:1], vcc
	s_cbranch_execz .LBB3_6
; %bb.2:
	s_add_i32 s2, s7, 64
	s_lshl_b64 s[2:3], s[2:3], 1
	s_add_u32 s2, s4, s2
	s_addc_u32 s3, s5, s3
	v_mov_b32_e32 v2, 0
	global_load_ushort v1, v2, s[2:3] sc1
	s_movk_i32 s7, 0xff
	s_waitcnt vmcnt(0)
	v_cmp_gt_u32_sdwa s[10:11], v1, s7 src0_sel:WORD_0 src1_sel:DWORD
	s_and_b64 vcc, exec, s[10:11]
	s_cbranch_vccnz .LBB3_5
; %bb.3:
	s_movk_i32 s7, 0x100
.LBB3_4:                                ; =>This Inner Loop Header: Depth=1
	global_load_ushort v1, v2, s[2:3] sc1
	s_waitcnt vmcnt(0)
	v_cmp_lt_u32_sdwa s[10:11], v1, s7 src0_sel:WORD_0 src1_sel:DWORD
	s_and_b64 vcc, exec, s[10:11]
	s_cbranch_vccnz .LBB3_4
.LBB3_5:
	v_mov_b32_e32 v2, 0
	global_store_byte v2, v1, s[8:9]
.LBB3_6:
	s_or_b64 exec, exec, s[0:1]
.LBB3_7:
	v_cmp_gt_u32_e32 vcc, s6, v0
	s_and_saveexec_b64 s[0:1], vcc
	s_cbranch_execnz .LBB3_10
; %bb.8:
	s_or_b64 exec, exec, s[0:1]
	v_cmp_gt_u32_e32 vcc, 64, v0
	s_and_saveexec_b64 s[0:1], vcc
	s_cbranch_execnz .LBB3_11
.LBB3_9:
	s_endpgm
.LBB3_10:
	v_add_u32_e32 v2, 64, v0
	v_mov_b32_e32 v3, 0
	v_lshl_add_u64 v[4:5], v[2:3], 1, s[4:5]
	global_store_short v[4:5], v3, off
	s_or_b64 exec, exec, s[0:1]
	v_cmp_gt_u32_e32 vcc, 64, v0
	s_and_saveexec_b64 s[0:1], vcc
	s_cbranch_execz .LBB3_9
.LBB3_11:
	v_mov_b32_e32 v1, 0
	v_lshl_add_u64 v[0:1], v[0:1], 1, s[4:5]
	v_mov_b32_e32 v2, 0xffffff00
	global_store_short v[0:1], v2, off
	s_endpgm
	.section	.rodata,"a",@progbits
	.p2align	6, 0x0
	.amdhsa_kernel _ZN7rocprim17ROCPRIM_304000_NS6detail31init_lookback_scan_state_kernelINS1_19lookback_scan_stateIhLb0ELb1EEEEEvT_jjPNS5_10value_typeE
		.amdhsa_group_segment_fixed_size 0
		.amdhsa_private_segment_fixed_size 0
		.amdhsa_kernarg_size 280
		.amdhsa_user_sgpr_count 2
		.amdhsa_user_sgpr_dispatch_ptr 0
		.amdhsa_user_sgpr_queue_ptr 0
		.amdhsa_user_sgpr_kernarg_segment_ptr 1
		.amdhsa_user_sgpr_dispatch_id 0
		.amdhsa_user_sgpr_kernarg_preload_length 0
		.amdhsa_user_sgpr_kernarg_preload_offset 0
		.amdhsa_user_sgpr_private_segment_size 0
		.amdhsa_uses_dynamic_stack 0
		.amdhsa_enable_private_segment 0
		.amdhsa_system_sgpr_workgroup_id_x 1
		.amdhsa_system_sgpr_workgroup_id_y 0
		.amdhsa_system_sgpr_workgroup_id_z 0
		.amdhsa_system_sgpr_workgroup_info 0
		.amdhsa_system_vgpr_workitem_id 0
		.amdhsa_next_free_vgpr 6
		.amdhsa_next_free_sgpr 12
		.amdhsa_accum_offset 8
		.amdhsa_reserve_vcc 1
		.amdhsa_float_round_mode_32 0
		.amdhsa_float_round_mode_16_64 0
		.amdhsa_float_denorm_mode_32 3
		.amdhsa_float_denorm_mode_16_64 3
		.amdhsa_dx10_clamp 1
		.amdhsa_ieee_mode 1
		.amdhsa_fp16_overflow 0
		.amdhsa_tg_split 0
		.amdhsa_exception_fp_ieee_invalid_op 0
		.amdhsa_exception_fp_denorm_src 0
		.amdhsa_exception_fp_ieee_div_zero 0
		.amdhsa_exception_fp_ieee_overflow 0
		.amdhsa_exception_fp_ieee_underflow 0
		.amdhsa_exception_fp_ieee_inexact 0
		.amdhsa_exception_int_div_zero 0
	.end_amdhsa_kernel
	.section	.text._ZN7rocprim17ROCPRIM_304000_NS6detail31init_lookback_scan_state_kernelINS1_19lookback_scan_stateIhLb0ELb1EEEEEvT_jjPNS5_10value_typeE,"axG",@progbits,_ZN7rocprim17ROCPRIM_304000_NS6detail31init_lookback_scan_state_kernelINS1_19lookback_scan_stateIhLb0ELb1EEEEEvT_jjPNS5_10value_typeE,comdat
.Lfunc_end3:
	.size	_ZN7rocprim17ROCPRIM_304000_NS6detail31init_lookback_scan_state_kernelINS1_19lookback_scan_stateIhLb0ELb1EEEEEvT_jjPNS5_10value_typeE, .Lfunc_end3-_ZN7rocprim17ROCPRIM_304000_NS6detail31init_lookback_scan_state_kernelINS1_19lookback_scan_stateIhLb0ELb1EEEEEvT_jjPNS5_10value_typeE
                                        ; -- End function
	.set _ZN7rocprim17ROCPRIM_304000_NS6detail31init_lookback_scan_state_kernelINS1_19lookback_scan_stateIhLb0ELb1EEEEEvT_jjPNS5_10value_typeE.num_vgpr, 6
	.set _ZN7rocprim17ROCPRIM_304000_NS6detail31init_lookback_scan_state_kernelINS1_19lookback_scan_stateIhLb0ELb1EEEEEvT_jjPNS5_10value_typeE.num_agpr, 0
	.set _ZN7rocprim17ROCPRIM_304000_NS6detail31init_lookback_scan_state_kernelINS1_19lookback_scan_stateIhLb0ELb1EEEEEvT_jjPNS5_10value_typeE.numbered_sgpr, 12
	.set _ZN7rocprim17ROCPRIM_304000_NS6detail31init_lookback_scan_state_kernelINS1_19lookback_scan_stateIhLb0ELb1EEEEEvT_jjPNS5_10value_typeE.num_named_barrier, 0
	.set _ZN7rocprim17ROCPRIM_304000_NS6detail31init_lookback_scan_state_kernelINS1_19lookback_scan_stateIhLb0ELb1EEEEEvT_jjPNS5_10value_typeE.private_seg_size, 0
	.set _ZN7rocprim17ROCPRIM_304000_NS6detail31init_lookback_scan_state_kernelINS1_19lookback_scan_stateIhLb0ELb1EEEEEvT_jjPNS5_10value_typeE.uses_vcc, 1
	.set _ZN7rocprim17ROCPRIM_304000_NS6detail31init_lookback_scan_state_kernelINS1_19lookback_scan_stateIhLb0ELb1EEEEEvT_jjPNS5_10value_typeE.uses_flat_scratch, 0
	.set _ZN7rocprim17ROCPRIM_304000_NS6detail31init_lookback_scan_state_kernelINS1_19lookback_scan_stateIhLb0ELb1EEEEEvT_jjPNS5_10value_typeE.has_dyn_sized_stack, 0
	.set _ZN7rocprim17ROCPRIM_304000_NS6detail31init_lookback_scan_state_kernelINS1_19lookback_scan_stateIhLb0ELb1EEEEEvT_jjPNS5_10value_typeE.has_recursion, 0
	.set _ZN7rocprim17ROCPRIM_304000_NS6detail31init_lookback_scan_state_kernelINS1_19lookback_scan_stateIhLb0ELb1EEEEEvT_jjPNS5_10value_typeE.has_indirect_call, 0
	.section	.AMDGPU.csdata,"",@progbits
; Kernel info:
; codeLenInByte = 280
; TotalNumSgprs: 18
; NumVgprs: 6
; NumAgprs: 0
; TotalNumVgprs: 6
; ScratchSize: 0
; MemoryBound: 0
; FloatMode: 240
; IeeeMode: 1
; LDSByteSize: 0 bytes/workgroup (compile time only)
; SGPRBlocks: 2
; VGPRBlocks: 0
; NumSGPRsForWavesPerEU: 18
; NumVGPRsForWavesPerEU: 6
; AccumOffset: 8
; Occupancy: 8
; WaveLimiterHint : 0
; COMPUTE_PGM_RSRC2:SCRATCH_EN: 0
; COMPUTE_PGM_RSRC2:USER_SGPR: 2
; COMPUTE_PGM_RSRC2:TRAP_HANDLER: 0
; COMPUTE_PGM_RSRC2:TGID_X_EN: 1
; COMPUTE_PGM_RSRC2:TGID_Y_EN: 0
; COMPUTE_PGM_RSRC2:TGID_Z_EN: 0
; COMPUTE_PGM_RSRC2:TIDIG_COMP_CNT: 0
; COMPUTE_PGM_RSRC3_GFX90A:ACCUM_OFFSET: 1
; COMPUTE_PGM_RSRC3_GFX90A:TG_SPLIT: 0
	.section	.text._ZN7rocprim17ROCPRIM_304000_NS6detail20lookback_scan_kernelILNS1_25lookback_scan_determinismE0ELb0ENS1_19wrapped_scan_configINS0_14default_configEhEEPKhPhSt4plusIhEhhNS1_19lookback_scan_stateIhLb1ELb1EEEEEvT2_T3_mT5_T4_T7_jPT6_SK_bb,"axG",@progbits,_ZN7rocprim17ROCPRIM_304000_NS6detail20lookback_scan_kernelILNS1_25lookback_scan_determinismE0ELb0ENS1_19wrapped_scan_configINS0_14default_configEhEEPKhPhSt4plusIhEhhNS1_19lookback_scan_stateIhLb1ELb1EEEEEvT2_T3_mT5_T4_T7_jPT6_SK_bb,comdat
	.protected	_ZN7rocprim17ROCPRIM_304000_NS6detail20lookback_scan_kernelILNS1_25lookback_scan_determinismE0ELb0ENS1_19wrapped_scan_configINS0_14default_configEhEEPKhPhSt4plusIhEhhNS1_19lookback_scan_stateIhLb1ELb1EEEEEvT2_T3_mT5_T4_T7_jPT6_SK_bb ; -- Begin function _ZN7rocprim17ROCPRIM_304000_NS6detail20lookback_scan_kernelILNS1_25lookback_scan_determinismE0ELb0ENS1_19wrapped_scan_configINS0_14default_configEhEEPKhPhSt4plusIhEhhNS1_19lookback_scan_stateIhLb1ELb1EEEEEvT2_T3_mT5_T4_T7_jPT6_SK_bb
	.globl	_ZN7rocprim17ROCPRIM_304000_NS6detail20lookback_scan_kernelILNS1_25lookback_scan_determinismE0ELb0ENS1_19wrapped_scan_configINS0_14default_configEhEEPKhPhSt4plusIhEhhNS1_19lookback_scan_stateIhLb1ELb1EEEEEvT2_T3_mT5_T4_T7_jPT6_SK_bb
	.p2align	8
	.type	_ZN7rocprim17ROCPRIM_304000_NS6detail20lookback_scan_kernelILNS1_25lookback_scan_determinismE0ELb0ENS1_19wrapped_scan_configINS0_14default_configEhEEPKhPhSt4plusIhEhhNS1_19lookback_scan_stateIhLb1ELb1EEEEEvT2_T3_mT5_T4_T7_jPT6_SK_bb,@function
_ZN7rocprim17ROCPRIM_304000_NS6detail20lookback_scan_kernelILNS1_25lookback_scan_determinismE0ELb0ENS1_19wrapped_scan_configINS0_14default_configEhEEPKhPhSt4plusIhEhhNS1_19lookback_scan_stateIhLb1ELb1EEEEEvT2_T3_mT5_T4_T7_jPT6_SK_bb: ; @_ZN7rocprim17ROCPRIM_304000_NS6detail20lookback_scan_kernelILNS1_25lookback_scan_determinismE0ELb0ENS1_19wrapped_scan_configINS0_14default_configEhEEPKhPhSt4plusIhEhhNS1_19lookback_scan_stateIhLb1ELb1EEEEEvT2_T3_mT5_T4_T7_jPT6_SK_bb
; %bb.0:
	s_endpgm
	.section	.rodata,"a",@progbits
	.p2align	6, 0x0
	.amdhsa_kernel _ZN7rocprim17ROCPRIM_304000_NS6detail20lookback_scan_kernelILNS1_25lookback_scan_determinismE0ELb0ENS1_19wrapped_scan_configINS0_14default_configEhEEPKhPhSt4plusIhEhhNS1_19lookback_scan_stateIhLb1ELb1EEEEEvT2_T3_mT5_T4_T7_jPT6_SK_bb
		.amdhsa_group_segment_fixed_size 0
		.amdhsa_private_segment_fixed_size 0
		.amdhsa_kernarg_size 68
		.amdhsa_user_sgpr_count 2
		.amdhsa_user_sgpr_dispatch_ptr 0
		.amdhsa_user_sgpr_queue_ptr 0
		.amdhsa_user_sgpr_kernarg_segment_ptr 1
		.amdhsa_user_sgpr_dispatch_id 0
		.amdhsa_user_sgpr_kernarg_preload_length 0
		.amdhsa_user_sgpr_kernarg_preload_offset 0
		.amdhsa_user_sgpr_private_segment_size 0
		.amdhsa_uses_dynamic_stack 0
		.amdhsa_enable_private_segment 0
		.amdhsa_system_sgpr_workgroup_id_x 1
		.amdhsa_system_sgpr_workgroup_id_y 0
		.amdhsa_system_sgpr_workgroup_id_z 0
		.amdhsa_system_sgpr_workgroup_info 0
		.amdhsa_system_vgpr_workitem_id 0
		.amdhsa_next_free_vgpr 1
		.amdhsa_next_free_sgpr 0
		.amdhsa_accum_offset 4
		.amdhsa_reserve_vcc 0
		.amdhsa_float_round_mode_32 0
		.amdhsa_float_round_mode_16_64 0
		.amdhsa_float_denorm_mode_32 3
		.amdhsa_float_denorm_mode_16_64 3
		.amdhsa_dx10_clamp 1
		.amdhsa_ieee_mode 1
		.amdhsa_fp16_overflow 0
		.amdhsa_tg_split 0
		.amdhsa_exception_fp_ieee_invalid_op 0
		.amdhsa_exception_fp_denorm_src 0
		.amdhsa_exception_fp_ieee_div_zero 0
		.amdhsa_exception_fp_ieee_overflow 0
		.amdhsa_exception_fp_ieee_underflow 0
		.amdhsa_exception_fp_ieee_inexact 0
		.amdhsa_exception_int_div_zero 0
	.end_amdhsa_kernel
	.section	.text._ZN7rocprim17ROCPRIM_304000_NS6detail20lookback_scan_kernelILNS1_25lookback_scan_determinismE0ELb0ENS1_19wrapped_scan_configINS0_14default_configEhEEPKhPhSt4plusIhEhhNS1_19lookback_scan_stateIhLb1ELb1EEEEEvT2_T3_mT5_T4_T7_jPT6_SK_bb,"axG",@progbits,_ZN7rocprim17ROCPRIM_304000_NS6detail20lookback_scan_kernelILNS1_25lookback_scan_determinismE0ELb0ENS1_19wrapped_scan_configINS0_14default_configEhEEPKhPhSt4plusIhEhhNS1_19lookback_scan_stateIhLb1ELb1EEEEEvT2_T3_mT5_T4_T7_jPT6_SK_bb,comdat
.Lfunc_end4:
	.size	_ZN7rocprim17ROCPRIM_304000_NS6detail20lookback_scan_kernelILNS1_25lookback_scan_determinismE0ELb0ENS1_19wrapped_scan_configINS0_14default_configEhEEPKhPhSt4plusIhEhhNS1_19lookback_scan_stateIhLb1ELb1EEEEEvT2_T3_mT5_T4_T7_jPT6_SK_bb, .Lfunc_end4-_ZN7rocprim17ROCPRIM_304000_NS6detail20lookback_scan_kernelILNS1_25lookback_scan_determinismE0ELb0ENS1_19wrapped_scan_configINS0_14default_configEhEEPKhPhSt4plusIhEhhNS1_19lookback_scan_stateIhLb1ELb1EEEEEvT2_T3_mT5_T4_T7_jPT6_SK_bb
                                        ; -- End function
	.set _ZN7rocprim17ROCPRIM_304000_NS6detail20lookback_scan_kernelILNS1_25lookback_scan_determinismE0ELb0ENS1_19wrapped_scan_configINS0_14default_configEhEEPKhPhSt4plusIhEhhNS1_19lookback_scan_stateIhLb1ELb1EEEEEvT2_T3_mT5_T4_T7_jPT6_SK_bb.num_vgpr, 0
	.set _ZN7rocprim17ROCPRIM_304000_NS6detail20lookback_scan_kernelILNS1_25lookback_scan_determinismE0ELb0ENS1_19wrapped_scan_configINS0_14default_configEhEEPKhPhSt4plusIhEhhNS1_19lookback_scan_stateIhLb1ELb1EEEEEvT2_T3_mT5_T4_T7_jPT6_SK_bb.num_agpr, 0
	.set _ZN7rocprim17ROCPRIM_304000_NS6detail20lookback_scan_kernelILNS1_25lookback_scan_determinismE0ELb0ENS1_19wrapped_scan_configINS0_14default_configEhEEPKhPhSt4plusIhEhhNS1_19lookback_scan_stateIhLb1ELb1EEEEEvT2_T3_mT5_T4_T7_jPT6_SK_bb.numbered_sgpr, 0
	.set _ZN7rocprim17ROCPRIM_304000_NS6detail20lookback_scan_kernelILNS1_25lookback_scan_determinismE0ELb0ENS1_19wrapped_scan_configINS0_14default_configEhEEPKhPhSt4plusIhEhhNS1_19lookback_scan_stateIhLb1ELb1EEEEEvT2_T3_mT5_T4_T7_jPT6_SK_bb.num_named_barrier, 0
	.set _ZN7rocprim17ROCPRIM_304000_NS6detail20lookback_scan_kernelILNS1_25lookback_scan_determinismE0ELb0ENS1_19wrapped_scan_configINS0_14default_configEhEEPKhPhSt4plusIhEhhNS1_19lookback_scan_stateIhLb1ELb1EEEEEvT2_T3_mT5_T4_T7_jPT6_SK_bb.private_seg_size, 0
	.set _ZN7rocprim17ROCPRIM_304000_NS6detail20lookback_scan_kernelILNS1_25lookback_scan_determinismE0ELb0ENS1_19wrapped_scan_configINS0_14default_configEhEEPKhPhSt4plusIhEhhNS1_19lookback_scan_stateIhLb1ELb1EEEEEvT2_T3_mT5_T4_T7_jPT6_SK_bb.uses_vcc, 0
	.set _ZN7rocprim17ROCPRIM_304000_NS6detail20lookback_scan_kernelILNS1_25lookback_scan_determinismE0ELb0ENS1_19wrapped_scan_configINS0_14default_configEhEEPKhPhSt4plusIhEhhNS1_19lookback_scan_stateIhLb1ELb1EEEEEvT2_T3_mT5_T4_T7_jPT6_SK_bb.uses_flat_scratch, 0
	.set _ZN7rocprim17ROCPRIM_304000_NS6detail20lookback_scan_kernelILNS1_25lookback_scan_determinismE0ELb0ENS1_19wrapped_scan_configINS0_14default_configEhEEPKhPhSt4plusIhEhhNS1_19lookback_scan_stateIhLb1ELb1EEEEEvT2_T3_mT5_T4_T7_jPT6_SK_bb.has_dyn_sized_stack, 0
	.set _ZN7rocprim17ROCPRIM_304000_NS6detail20lookback_scan_kernelILNS1_25lookback_scan_determinismE0ELb0ENS1_19wrapped_scan_configINS0_14default_configEhEEPKhPhSt4plusIhEhhNS1_19lookback_scan_stateIhLb1ELb1EEEEEvT2_T3_mT5_T4_T7_jPT6_SK_bb.has_recursion, 0
	.set _ZN7rocprim17ROCPRIM_304000_NS6detail20lookback_scan_kernelILNS1_25lookback_scan_determinismE0ELb0ENS1_19wrapped_scan_configINS0_14default_configEhEEPKhPhSt4plusIhEhhNS1_19lookback_scan_stateIhLb1ELb1EEEEEvT2_T3_mT5_T4_T7_jPT6_SK_bb.has_indirect_call, 0
	.section	.AMDGPU.csdata,"",@progbits
; Kernel info:
; codeLenInByte = 4
; TotalNumSgprs: 6
; NumVgprs: 0
; NumAgprs: 0
; TotalNumVgprs: 0
; ScratchSize: 0
; MemoryBound: 0
; FloatMode: 240
; IeeeMode: 1
; LDSByteSize: 0 bytes/workgroup (compile time only)
; SGPRBlocks: 0
; VGPRBlocks: 0
; NumSGPRsForWavesPerEU: 6
; NumVGPRsForWavesPerEU: 1
; AccumOffset: 4
; Occupancy: 8
; WaveLimiterHint : 0
; COMPUTE_PGM_RSRC2:SCRATCH_EN: 0
; COMPUTE_PGM_RSRC2:USER_SGPR: 2
; COMPUTE_PGM_RSRC2:TRAP_HANDLER: 0
; COMPUTE_PGM_RSRC2:TGID_X_EN: 1
; COMPUTE_PGM_RSRC2:TGID_Y_EN: 0
; COMPUTE_PGM_RSRC2:TGID_Z_EN: 0
; COMPUTE_PGM_RSRC2:TIDIG_COMP_CNT: 0
; COMPUTE_PGM_RSRC3_GFX90A:ACCUM_OFFSET: 0
; COMPUTE_PGM_RSRC3_GFX90A:TG_SPLIT: 0
	.section	.text._ZN7rocprim17ROCPRIM_304000_NS6detail20lookback_scan_kernelILNS1_25lookback_scan_determinismE0ELb0ENS1_19wrapped_scan_configINS0_14default_configEhEEPKhPhSt4plusIhEhhNS1_19lookback_scan_stateIhLb0ELb1EEEEEvT2_T3_mT5_T4_T7_jPT6_SK_bb,"axG",@progbits,_ZN7rocprim17ROCPRIM_304000_NS6detail20lookback_scan_kernelILNS1_25lookback_scan_determinismE0ELb0ENS1_19wrapped_scan_configINS0_14default_configEhEEPKhPhSt4plusIhEhhNS1_19lookback_scan_stateIhLb0ELb1EEEEEvT2_T3_mT5_T4_T7_jPT6_SK_bb,comdat
	.protected	_ZN7rocprim17ROCPRIM_304000_NS6detail20lookback_scan_kernelILNS1_25lookback_scan_determinismE0ELb0ENS1_19wrapped_scan_configINS0_14default_configEhEEPKhPhSt4plusIhEhhNS1_19lookback_scan_stateIhLb0ELb1EEEEEvT2_T3_mT5_T4_T7_jPT6_SK_bb ; -- Begin function _ZN7rocprim17ROCPRIM_304000_NS6detail20lookback_scan_kernelILNS1_25lookback_scan_determinismE0ELb0ENS1_19wrapped_scan_configINS0_14default_configEhEEPKhPhSt4plusIhEhhNS1_19lookback_scan_stateIhLb0ELb1EEEEEvT2_T3_mT5_T4_T7_jPT6_SK_bb
	.globl	_ZN7rocprim17ROCPRIM_304000_NS6detail20lookback_scan_kernelILNS1_25lookback_scan_determinismE0ELb0ENS1_19wrapped_scan_configINS0_14default_configEhEEPKhPhSt4plusIhEhhNS1_19lookback_scan_stateIhLb0ELb1EEEEEvT2_T3_mT5_T4_T7_jPT6_SK_bb
	.p2align	8
	.type	_ZN7rocprim17ROCPRIM_304000_NS6detail20lookback_scan_kernelILNS1_25lookback_scan_determinismE0ELb0ENS1_19wrapped_scan_configINS0_14default_configEhEEPKhPhSt4plusIhEhhNS1_19lookback_scan_stateIhLb0ELb1EEEEEvT2_T3_mT5_T4_T7_jPT6_SK_bb,@function
_ZN7rocprim17ROCPRIM_304000_NS6detail20lookback_scan_kernelILNS1_25lookback_scan_determinismE0ELb0ENS1_19wrapped_scan_configINS0_14default_configEhEEPKhPhSt4plusIhEhhNS1_19lookback_scan_stateIhLb0ELb1EEEEEvT2_T3_mT5_T4_T7_jPT6_SK_bb: ; @_ZN7rocprim17ROCPRIM_304000_NS6detail20lookback_scan_kernelILNS1_25lookback_scan_determinismE0ELb0ENS1_19wrapped_scan_configINS0_14default_configEhEEPKhPhSt4plusIhEhhNS1_19lookback_scan_stateIhLb0ELb1EEEEEvT2_T3_mT5_T4_T7_jPT6_SK_bb
; %bb.0:
	s_load_dword s3, s[0:1], 0x28
	s_load_dwordx2 s[4:5], s[0:1], 0x10
	s_load_dwordx4 s[12:15], s[0:1], 0x0
	s_mul_i32 s22, s2, 0x1800
	s_waitcnt lgkmcnt(0)
	s_add_i32 s3, s3, -1
	s_mul_i32 s6, s3, 0x1800
	s_sub_u32 s20, s4, s6
	s_subb_u32 s21, s5, 0
	s_cmp_lg_u32 s2, s3
	s_cselect_b64 s[16:17], -1, 0
	s_add_u32 s6, s12, s22
	s_addc_u32 s7, s13, 0
	s_mov_b64 s[4:5], -1
	s_and_b64 vcc, exec, s[16:17]
	s_cbranch_vccz .LBB5_2
; %bb.1:
	v_mov_b32_e32 v1, 0
	v_lshl_add_u64 v[2:3], s[6:7], 0, v[0:1]
	s_movk_i32 s3, 0x1000
	v_add_co_u32_e32 v2, vcc, s3, v2
	global_load_ubyte v1, v0, s[6:7]
	global_load_ubyte v4, v0, s[6:7] offset:256
	global_load_ubyte v5, v0, s[6:7] offset:512
	;; [unrolled: 1-line block ×15, first 2 shown]
	v_addc_co_u32_e32 v3, vcc, 0, v3, vcc
	global_load_ubyte v19, v[2:3], off
	global_load_ubyte v20, v[2:3], off offset:256
	global_load_ubyte v21, v[2:3], off offset:512
	;; [unrolled: 1-line block ×7, first 2 shown]
	s_mov_b64 s[4:5], 0
	s_waitcnt vmcnt(23)
	ds_write_b8 v0, v1
	s_waitcnt vmcnt(22)
	ds_write_b8 v0, v4 offset:256
	s_waitcnt vmcnt(21)
	ds_write_b8 v0, v5 offset:512
	;; [unrolled: 2-line block ×23, first 2 shown]
	s_waitcnt lgkmcnt(0)
	s_barrier
.LBB5_2:
	s_andn2_b64 vcc, exec, s[4:5]
	v_cmp_gt_u32_e64 s[4:5], s20, v0
	s_cbranch_vccnz .LBB5_52
; %bb.3:
	v_mov_b32_e32 v1, 0
	global_load_ubyte v10, v1, s[6:7]
	v_lshl_add_u64 v[8:9], s[6:7], 0, v[0:1]
	s_waitcnt vmcnt(0)
	v_readfirstlane_b32 s3, v10
	s_lshl_b32 s8, s3, 8
	s_or_b32 s3, s3, s8
	s_and_b32 s8, s3, 0xffff
	s_lshl_b32 s3, s3, 16
	s_or_b32 s8, s8, s3
	s_mov_b32 s9, s8
	s_mov_b32 s10, s8
	;; [unrolled: 1-line block ×5, first 2 shown]
	v_mov_b64_e32 v[2:3], s[8:9]
	v_mov_b64_e32 v[4:5], s[10:11]
	;; [unrolled: 1-line block ×3, first 2 shown]
	s_and_saveexec_b64 s[6:7], s[4:5]
	s_cbranch_execz .LBB5_5
; %bb.4:
	global_load_ubyte v10, v[8:9], off
	v_mov_b32_e32 v1, 0x3020104
	v_mov_b32_e32 v3, s8
	;; [unrolled: 1-line block ×6, first 2 shown]
	s_waitcnt vmcnt(0)
	v_perm_b32 v2, v10, s8, v1
.LBB5_5:
	s_or_b64 exec, exec, s[6:7]
	v_or_b32_e32 v1, 0x100, v0
	v_cmp_gt_u32_e32 vcc, s20, v1
	s_and_saveexec_b64 s[4:5], vcc
	s_cbranch_execz .LBB5_7
; %bb.6:
	global_load_ubyte v1, v[8:9], off offset:256
	s_mov_b32 s3, 0x7060004
	s_waitcnt vmcnt(0)
	v_perm_b32 v2, v2, v1, s3
.LBB5_7:
	s_or_b64 exec, exec, s[4:5]
	v_or_b32_e32 v1, 0x200, v0
	v_cmp_gt_u32_e32 vcc, s20, v1
	s_and_saveexec_b64 s[4:5], vcc
	s_cbranch_execz .LBB5_9
; %bb.8:
	global_load_ubyte v1, v[8:9], off offset:512
	s_mov_b32 s3, 0x7000504
	s_waitcnt vmcnt(0)
	v_perm_b32 v2, v2, v1, s3
.LBB5_9:
	;; [unrolled: 11-line block ×15, first 2 shown]
	s_or_b64 exec, exec, s[4:5]
	v_or_b32_e32 v1, 0x1000, v0
	v_cmp_gt_u32_e32 vcc, s20, v1
	s_and_saveexec_b64 s[4:5], vcc
	s_cbranch_execz .LBB5_37
; %bb.36:
	v_add_co_u32_e32 v12, vcc, 0x1000, v8
	s_mov_b32 s3, 0x3020104
	s_nop 0
	v_addc_co_u32_e32 v13, vcc, 0, v9, vcc
	global_load_ubyte v1, v[12:13], off
	s_waitcnt vmcnt(0)
	v_perm_b32 v6, v1, v6, s3
.LBB5_37:
	s_or_b64 exec, exec, s[4:5]
	v_or_b32_e32 v1, 0x1100, v0
	v_cmp_gt_u32_e32 vcc, s20, v1
	s_and_saveexec_b64 s[4:5], vcc
	s_cbranch_execz .LBB5_39
; %bb.38:
	v_add_co_u32_e32 v12, vcc, 0x1000, v8
	s_mov_b32 s3, 0x7060004
	s_nop 0
	v_addc_co_u32_e32 v13, vcc, 0, v9, vcc
	global_load_ubyte v1, v[12:13], off offset:256
	s_waitcnt vmcnt(0)
	v_perm_b32 v6, v6, v1, s3
.LBB5_39:
	s_or_b64 exec, exec, s[4:5]
	v_or_b32_e32 v1, 0x1200, v0
	v_cmp_gt_u32_e32 vcc, s20, v1
	s_and_saveexec_b64 s[4:5], vcc
	s_cbranch_execz .LBB5_41
; %bb.40:
	v_add_co_u32_e32 v12, vcc, 0x1000, v8
	s_mov_b32 s3, 0x7000504
	s_nop 0
	v_addc_co_u32_e32 v13, vcc, 0, v9, vcc
	global_load_ubyte v1, v[12:13], off offset:512
	s_waitcnt vmcnt(0)
	v_perm_b32 v6, v6, v1, s3
.LBB5_41:
	;; [unrolled: 14-line block ×7, first 2 shown]
	s_or_b64 exec, exec, s[4:5]
	v_lshrrev_b32_e32 v1, 8, v2
	ds_write_b8 v0, v10
	ds_write_b8 v0, v1 offset:256
	ds_write_b8_d16_hi v0, v2 offset:512
	v_lshrrev_b32_e32 v1, 24, v2
	ds_write_b8 v0, v1 offset:768
	ds_write_b8 v0, v3 offset:1024
	v_lshrrev_b32_e32 v1, 8, v3
	ds_write_b8 v0, v1 offset:1280
	ds_write_b8_d16_hi v0, v3 offset:1536
	v_lshrrev_b32_e32 v1, 24, v3
	ds_write_b8 v0, v1 offset:1792
	ds_write_b8 v0, v4 offset:2048
	v_lshrrev_b32_e32 v1, 8, v4
	;; [unrolled: 6-line block ×5, first 2 shown]
	ds_write_b8 v0, v1 offset:5376
	ds_write_b8_d16_hi v0, v7 offset:5632
	v_lshrrev_b32_e32 v1, 24, v7
	ds_write_b8 v0, v1 offset:5888
	s_waitcnt lgkmcnt(0)
	s_barrier
.LBB5_52:
	v_mul_u32_u24_e32 v14, 24, v0
	s_load_dwordx2 s[12:13], s[0:1], 0x20
	s_waitcnt lgkmcnt(0)
	ds_read2_b64 v[8:11], v14 offset1:1
	ds_read_b64 v[12:13], v14 offset:16
	s_cmp_lg_u32 s2, 0
	v_mbcnt_lo_u32_b32 v16, -1, 0
	v_lshrrev_b32_e32 v1, 6, v0
	v_or_b32_e32 v15, 63, v0
	s_waitcnt lgkmcnt(0)
	s_barrier
	s_cbranch_scc0 .LBB5_74
; %bb.53:
	v_lshrrev_b32_e32 v17, 8, v8
	v_add_u16_e32 v2, v17, v8
	v_add_u16_sdwa v2, v2, v8 dst_sel:DWORD dst_unused:UNUSED_PAD src0_sel:DWORD src1_sel:WORD_1
	v_add_u16_sdwa v2, v2, v8 dst_sel:DWORD dst_unused:UNUSED_PAD src0_sel:DWORD src1_sel:BYTE_3
	v_add_u16_e32 v2, v2, v9
	v_lshrrev_b32_e32 v18, 8, v9
	v_add_u16_e32 v2, v2, v18
	v_add_u16_sdwa v2, v2, v9 dst_sel:DWORD dst_unused:UNUSED_PAD src0_sel:DWORD src1_sel:WORD_1
	v_add_u16_sdwa v2, v2, v9 dst_sel:DWORD dst_unused:UNUSED_PAD src0_sel:DWORD src1_sel:BYTE_3
	v_add_u16_e32 v2, v2, v10
	v_lshrrev_b32_e32 v19, 8, v10
	v_add_u16_e32 v2, v2, v19
	v_add_u16_sdwa v2, v2, v10 dst_sel:DWORD dst_unused:UNUSED_PAD src0_sel:DWORD src1_sel:WORD_1
	v_add_u16_sdwa v2, v2, v10 dst_sel:DWORD dst_unused:UNUSED_PAD src0_sel:DWORD src1_sel:BYTE_3
	v_add_u16_e32 v2, v2, v11
	v_lshrrev_b32_e32 v20, 8, v11
	v_add_u16_e32 v2, v2, v20
	v_add_u16_sdwa v2, v2, v11 dst_sel:DWORD dst_unused:UNUSED_PAD src0_sel:DWORD src1_sel:WORD_1
	v_add_u16_sdwa v2, v2, v11 dst_sel:DWORD dst_unused:UNUSED_PAD src0_sel:DWORD src1_sel:BYTE_3
	v_add_u16_e32 v2, v2, v12
	v_lshrrev_b32_e32 v21, 8, v12
	v_add_u16_e32 v2, v2, v21
	v_add_u16_sdwa v2, v2, v12 dst_sel:DWORD dst_unused:UNUSED_PAD src0_sel:DWORD src1_sel:WORD_1
	v_add_u16_sdwa v2, v2, v12 dst_sel:DWORD dst_unused:UNUSED_PAD src0_sel:DWORD src1_sel:BYTE_3
	v_add_u16_e32 v2, v2, v13
	v_lshrrev_b32_e32 v22, 8, v13
	v_add_u16_e32 v2, v2, v22
	v_add_u16_sdwa v2, v2, v13 dst_sel:DWORD dst_unused:UNUSED_PAD src0_sel:DWORD src1_sel:WORD_1
	v_add_u16_sdwa v2, v2, v13 dst_sel:DWORD dst_unused:UNUSED_PAD src0_sel:DWORD src1_sel:BYTE_3
	v_mbcnt_hi_u32_b32 v3, -1, v16
	v_and_b32_e32 v4, 15, v3
	v_and_b32_e32 v5, 0xff, v2
	v_cmp_ne_u32_e32 vcc, 0, v4
	s_nop 0
	v_mov_b32_dpp v5, v5 row_shr:1 row_mask:0xf bank_mask:0xf
	v_cndmask_b32_e32 v5, 0, v5, vcc
	v_add_u16_e32 v2, v5, v2
	v_and_b32_e32 v5, 0xff, v2
	v_cmp_lt_u32_e32 vcc, 1, v4
	s_nop 0
	v_mov_b32_dpp v5, v5 row_shr:2 row_mask:0xf bank_mask:0xf
	v_cndmask_b32_e32 v5, 0, v5, vcc
	v_add_u16_e32 v2, v2, v5
	v_and_b32_e32 v5, 0xff, v2
	v_cmp_lt_u32_e32 vcc, 3, v4
	;; [unrolled: 6-line block ×3, first 2 shown]
	s_nop 0
	v_mov_b32_dpp v5, v5 row_shr:8 row_mask:0xf bank_mask:0xf
	v_cndmask_b32_e32 v4, 0, v5, vcc
	v_add_u16_e32 v2, v2, v4
	v_and_b32_e32 v4, 0xff, v2
	v_and_b32_e32 v5, 16, v3
	v_cmp_ne_u32_e32 vcc, 0, v5
	v_mov_b32_dpp v4, v4 row_bcast:15 row_mask:0xf bank_mask:0xf
	s_nop 0
	v_cndmask_b32_e32 v4, 0, v4, vcc
	v_add_u16_e32 v2, v2, v4
	v_and_b32_e32 v4, 0xff, v2
	v_cmp_lt_u32_e32 vcc, 31, v3
	s_nop 0
	v_mov_b32_dpp v4, v4 row_bcast:31 row_mask:0xf bank_mask:0xf
	v_cndmask_b32_e32 v4, 0, v4, vcc
	v_add_u16_e32 v2, v2, v4
	v_cmp_eq_u32_e32 vcc, v0, v15
	s_and_saveexec_b64 s[4:5], vcc
; %bb.54:
	ds_write_b8 v1, v2
; %bb.55:
	s_or_b64 exec, exec, s[4:5]
	v_cmp_gt_u32_e32 vcc, 4, v0
	s_waitcnt lgkmcnt(0)
	s_barrier
	s_and_saveexec_b64 s[4:5], vcc
	s_cbranch_execz .LBB5_57
; %bb.56:
	ds_read_u8 v4, v0
	v_and_b32_e32 v5, 3, v3
	v_cmp_ne_u32_e32 vcc, 0, v5
	s_waitcnt lgkmcnt(0)
	v_and_b32_e32 v6, 0xff, v4
	s_nop 1
	v_mov_b32_dpp v6, v6 row_shr:1 row_mask:0xf bank_mask:0xf
	v_cndmask_b32_e32 v6, 0, v6, vcc
	v_add_u16_e32 v4, v6, v4
	v_and_b32_e32 v6, 0xff, v4
	v_cmp_lt_u32_e32 vcc, 1, v5
	s_nop 0
	v_mov_b32_dpp v6, v6 row_shr:2 row_mask:0xf bank_mask:0xf
	v_cndmask_b32_e32 v5, 0, v6, vcc
	v_add_u16_e32 v4, v4, v5
	ds_write_b8 v0, v4
.LBB5_57:
	s_or_b64 exec, exec, s[4:5]
	v_cmp_gt_u32_e32 vcc, 64, v0
	v_cmp_lt_u32_e64 s[4:5], 63, v0
	s_waitcnt lgkmcnt(0)
	s_barrier
                                        ; implicit-def: $vgpr23
	s_and_saveexec_b64 s[6:7], s[4:5]
	s_cbranch_execz .LBB5_59
; %bb.58:
	v_add_u32_e32 v4, -1, v1
	ds_read_u8 v23, v4
	s_waitcnt lgkmcnt(0)
	v_add_u16_e32 v2, v23, v2
.LBB5_59:
	s_or_b64 exec, exec, s[6:7]
	v_subrev_co_u32_e64 v4, s[4:5], 1, v3
	v_and_b32_e32 v5, 64, v3
	v_cmp_lt_i32_e64 s[6:7], v4, v5
	v_and_b32_e32 v2, 0xff, v2
	s_nop 0
	v_cndmask_b32_e64 v4, v4, v3, s[6:7]
	v_lshlrev_b32_e32 v4, 2, v4
	ds_bpermute_b32 v24, v4, v2
	s_and_saveexec_b64 s[18:19], vcc
	s_cbranch_execz .LBB5_79
; %bb.60:
	v_mov_b32_e32 v5, 0
	ds_read_u8 v25, v5 offset:3
	s_and_saveexec_b64 s[6:7], s[4:5]
	s_cbranch_execz .LBB5_62
; %bb.61:
	s_add_i32 s8, s2, 64
	s_mov_b32 s9, 0
	s_lshl_b64 s[8:9], s[8:9], 1
	s_movk_i32 s3, 0x100
	s_add_u32 s8, s12, s8
	s_waitcnt lgkmcnt(0)
	v_or_b32_sdwa v2, v25, s3 dst_sel:DWORD dst_unused:UNUSED_PAD src0_sel:BYTE_0 src1_sel:DWORD
	s_addc_u32 s9, s13, s9
	global_store_short v5, v2, s[8:9] sc1
.LBB5_62:
	s_or_b64 exec, exec, s[6:7]
	v_xad_u32 v2, v3, -1, s2
	v_add_u32_e32 v4, 64, v2
	v_lshl_add_u64 v[4:5], v[4:5], 1, s[12:13]
	global_load_ushort v6, v[4:5], off sc1
	s_waitcnt vmcnt(0)
	v_lshrrev_b16_e32 v26, 8, v6
	v_cmp_eq_u16_e32 vcc, 0, v26
	s_and_saveexec_b64 s[6:7], vcc
	s_cbranch_execz .LBB5_66
; %bb.63:
	s_mov_b64 s[8:9], 0
	v_mov_b32_e32 v7, 0
.LBB5_64:                               ; =>This Inner Loop Header: Depth=1
	global_load_ushort v6, v[4:5], off sc1
	s_waitcnt vmcnt(0)
	v_cmp_ne_u16_sdwa s[10:11], v6, v7 src0_sel:BYTE_1 src1_sel:DWORD
	s_or_b64 s[8:9], s[10:11], s[8:9]
	v_lshrrev_b16_e32 v26, 8, v6
	s_andn2_b64 exec, exec, s[8:9]
	s_cbranch_execnz .LBB5_64
; %bb.65:
	s_or_b64 exec, exec, s[8:9]
.LBB5_66:
	s_or_b64 exec, exec, s[6:7]
	v_cmp_eq_u16_e32 vcc, 2, v26
	v_lshlrev_b64 v[4:5], v3, -1
	v_and_b32_e32 v35, 63, v3
	v_and_b32_e32 v7, vcc_hi, v5
	v_and_b32_e32 v28, vcc_lo, v4
	v_cmp_ne_u32_e32 vcc, 63, v35
	v_and_b32_e32 v29, 0xff, v6
	v_or_b32_e32 v7, 0x80000000, v7
	v_addc_co_u32_e32 v27, vcc, 0, v3, vcc
	v_lshlrev_b32_e32 v27, 2, v27
	ds_bpermute_b32 v30, v27, v29
	v_ffbl_b32_e32 v7, v7
	v_add_u32_e32 v7, 32, v7
	v_ffbl_b32_e32 v28, v28
	v_min_u32_e32 v7, v28, v7
	v_add_u32_e32 v28, 1, v3
	s_waitcnt lgkmcnt(0)
	v_add_u16_e32 v30, v6, v30
	v_and_b32_e32 v31, 0xff, v30
	v_cmp_le_u32_e32 vcc, v28, v7
	v_cmp_gt_u32_e64 s[6:7], 62, v35
	v_cmp_gt_u32_e64 s[8:9], 60, v35
	v_cndmask_b32_e32 v31, v29, v31, vcc
	v_cndmask_b32_e64 v29, 0, 2, s[6:7]
	v_add_lshl_u32 v29, v29, v3, 2
	ds_bpermute_b32 v32, v29, v31
	v_cndmask_b32_e32 v33, v6, v30, vcc
	v_add_u32_e32 v30, 2, v3
	v_cmp_le_u32_e64 s[6:7], v30, v7
	v_cmp_gt_u32_e64 s[10:11], 56, v35
	s_waitcnt lgkmcnt(0)
	v_add_u16_e32 v32, v33, v32
	v_and_b32_e32 v34, 0xff, v32
	v_cndmask_b32_e64 v34, v31, v34, s[6:7]
	v_cndmask_b32_e64 v31, 0, 4, s[8:9]
	v_add_lshl_u32 v31, v31, v3, 2
	ds_bpermute_b32 v36, v31, v34
	v_cndmask_b32_e64 v37, v33, v32, s[6:7]
	v_add_u32_e32 v32, 4, v3
	v_cmp_le_u32_e64 s[8:9], v32, v7
	s_waitcnt lgkmcnt(0)
	v_add_u16_e32 v36, v37, v36
	v_and_b32_e32 v33, 0xff, v36
	v_cndmask_b32_e64 v38, v34, v33, s[8:9]
	v_cndmask_b32_e64 v33, 0, 8, s[10:11]
	v_add_lshl_u32 v33, v33, v3, 2
	ds_bpermute_b32 v39, v33, v38
	v_cndmask_b32_e64 v37, v37, v36, s[8:9]
	s_or_b64 s[10:11], vcc, s[6:7]
	v_add_u32_e32 v34, 8, v3
	v_cmp_gt_u32_e64 s[6:7], 48, v35
	s_waitcnt lgkmcnt(0)
	v_add_u16_e32 v39, v37, v39
	v_and_b32_e32 v36, 0xff, v39
	v_cmp_le_u32_e32 vcc, v34, v7
	v_cndmask_b32_e64 v35, 0, 16, s[6:7]
	s_or_b64 s[6:7], s[8:9], s[10:11]
	v_cndmask_b32_e32 v38, v38, v36, vcc
	v_add_lshl_u32 v36, v35, v3, 2
	ds_bpermute_b32 v35, v36, v38
	v_cndmask_b32_e32 v40, v37, v39, vcc
	v_add_u32_e32 v37, 16, v3
	s_or_b64 s[6:7], vcc, s[6:7]
	v_cmp_le_u32_e32 vcc, v37, v7
	s_waitcnt lgkmcnt(0)
	v_add_u16_e32 v35, v40, v35
	v_and_b32_e32 v39, 0xff, v35
	v_cndmask_b32_e32 v39, v38, v39, vcc
	v_mov_b32_e32 v38, 0x80
	v_lshl_or_b32 v38, v3, 2, v38
	ds_bpermute_b32 v41, v38, v39
	v_add_u32_e32 v39, 32, v3
	s_or_b64 s[6:7], vcc, s[6:7]
	v_cndmask_b32_e32 v3, v40, v35, vcc
	v_cmp_le_u32_e32 vcc, v39, v7
	v_mov_b32_e32 v40, 2
	s_waitcnt lgkmcnt(0)
	v_cndmask_b32_e32 v7, 0, v41, vcc
	v_add_u16_e32 v3, v3, v7
	s_or_b64 vcc, vcc, s[6:7]
	v_cndmask_b32_e32 v6, v6, v3, vcc
	v_mov_b32_e32 v3, 0
	s_branch .LBB5_70
.LBB5_67:                               ;   in Loop: Header=BB5_70 Depth=1
	s_or_b64 exec, exec, s[8:9]
.LBB5_68:                               ;   in Loop: Header=BB5_70 Depth=1
	s_or_b64 exec, exec, s[6:7]
	v_and_b32_e32 v42, 0xff, v41
	v_cmp_eq_u16_e32 vcc, 2, v26
	ds_bpermute_b32 v43, v27, v42
	v_subrev_u32_e32 v2, 64, v2
	v_and_b32_e32 v6, vcc_hi, v5
	v_or_b32_e32 v6, 0x80000000, v6
	v_and_b32_e32 v7, vcc_lo, v4
	v_ffbl_b32_e32 v6, v6
	v_add_u32_e32 v6, 32, v6
	v_ffbl_b32_e32 v7, v7
	v_min_u32_e32 v6, v7, v6
	s_waitcnt lgkmcnt(0)
	v_add_u16_e32 v7, v41, v43
	v_and_b32_e32 v43, 0xff, v7
	v_cmp_le_u32_e32 vcc, v28, v6
	v_cmp_le_u32_e64 s[6:7], v30, v6
	v_cmp_le_u32_e64 s[8:9], v32, v6
	v_cndmask_b32_e32 v42, v42, v43, vcc
	ds_bpermute_b32 v43, v29, v42
	v_cndmask_b32_e32 v7, v41, v7, vcc
	v_cmp_le_u32_e64 s[10:11], v34, v6
	s_waitcnt lgkmcnt(0)
	v_add_u16_e32 v43, v7, v43
	v_and_b32_e32 v44, 0xff, v43
	v_cndmask_b32_e64 v42, v42, v44, s[6:7]
	ds_bpermute_b32 v44, v31, v42
	v_cndmask_b32_e64 v7, v7, v43, s[6:7]
	s_or_b64 s[6:7], vcc, s[6:7]
	v_cmp_le_u32_e32 vcc, v37, v6
	s_or_b64 s[6:7], s[8:9], s[6:7]
	s_waitcnt lgkmcnt(0)
	v_add_u16_e32 v43, v7, v44
	v_and_b32_e32 v44, 0xff, v43
	v_cndmask_b32_e64 v42, v42, v44, s[8:9]
	ds_bpermute_b32 v44, v33, v42
	v_cndmask_b32_e64 v7, v7, v43, s[8:9]
	s_or_b64 s[6:7], s[10:11], s[6:7]
	s_or_b64 s[6:7], vcc, s[6:7]
	s_waitcnt lgkmcnt(0)
	v_add_u16_e32 v43, v7, v44
	v_and_b32_e32 v44, 0xff, v43
	v_cndmask_b32_e64 v42, v42, v44, s[10:11]
	ds_bpermute_b32 v44, v36, v42
	v_cndmask_b32_e64 v7, v7, v43, s[10:11]
	s_waitcnt lgkmcnt(0)
	v_add_u16_e32 v43, v7, v44
	v_and_b32_e32 v44, 0xff, v43
	v_cndmask_b32_e32 v42, v42, v44, vcc
	ds_bpermute_b32 v42, v38, v42
	v_cndmask_b32_e32 v7, v7, v43, vcc
	v_cmp_le_u32_e32 vcc, v39, v6
	s_waitcnt lgkmcnt(0)
	s_nop 0
	v_cndmask_b32_e32 v6, 0, v42, vcc
	v_add_u16_e32 v6, v7, v6
	s_or_b64 vcc, vcc, s[6:7]
	v_cndmask_b32_e32 v6, v41, v6, vcc
	v_add_u16_e32 v6, v6, v35
	s_mov_b64 s[6:7], 0
.LBB5_69:                               ;   in Loop: Header=BB5_70 Depth=1
	s_and_b64 vcc, exec, s[6:7]
	s_cbranch_vccnz .LBB5_75
.LBB5_70:                               ; =>This Loop Header: Depth=1
                                        ;     Child Loop BB5_73 Depth 2
	v_cmp_ne_u16_sdwa s[6:7], v26, v40 src0_sel:BYTE_0 src1_sel:DWORD
	v_mov_b32_e32 v35, v6
	s_cmp_lg_u64 s[6:7], exec
	s_mov_b64 s[6:7], -1
                                        ; implicit-def: $vgpr6
                                        ; implicit-def: $vgpr26
	s_cbranch_scc1 .LBB5_69
; %bb.71:                               ;   in Loop: Header=BB5_70 Depth=1
	v_lshl_add_u64 v[6:7], v[2:3], 1, s[12:13]
	global_load_ushort v41, v[6:7], off sc1
	s_waitcnt vmcnt(0)
	v_lshrrev_b16_e32 v26, 8, v41
	v_cmp_eq_u16_e32 vcc, 0, v26
	s_and_saveexec_b64 s[6:7], vcc
	s_cbranch_execz .LBB5_68
; %bb.72:                               ;   in Loop: Header=BB5_70 Depth=1
	s_mov_b64 s[8:9], 0
.LBB5_73:                               ;   Parent Loop BB5_70 Depth=1
                                        ; =>  This Inner Loop Header: Depth=2
	global_load_ushort v41, v[6:7], off sc1
	s_waitcnt vmcnt(0)
	v_lshrrev_b16_e32 v26, 8, v41
	v_cmp_ne_u16_e32 vcc, 0, v26
	s_or_b64 s[8:9], vcc, s[8:9]
	s_andn2_b64 exec, exec, s[8:9]
	s_cbranch_execnz .LBB5_73
	s_branch .LBB5_67
.LBB5_74:
                                        ; implicit-def: $vgpr2_vgpr3_vgpr4_vgpr5_vgpr6_vgpr7
	s_load_dwordx4 s[4:7], s[0:1], 0x30
	s_cbranch_execnz .LBB5_80
	s_branch .LBB5_91
.LBB5_75:
	s_and_saveexec_b64 s[6:7], s[4:5]
	s_cbranch_execz .LBB5_77
; %bb.76:
	v_add_u16_e32 v2, v35, v25
	s_movk_i32 s3, 0x200
	v_mov_b32_e32 v3, 0xff
	v_bitop3_b16 v2, v2, s3, v3 bitop3:0xec
	s_add_i32 s2, s2, 64
	s_mov_b32 s3, 0
	s_lshl_b64 s[2:3], s[2:3], 1
	s_add_u32 s2, s12, s2
	s_addc_u32 s3, s13, s3
	v_mov_b32_e32 v3, 0
	global_store_short v3, v2, s[2:3] sc1
.LBB5_77:
	s_or_b64 exec, exec, s[6:7]
	v_cmp_eq_u32_e32 vcc, 0, v0
	s_and_b64 exec, exec, vcc
; %bb.78:
	v_mov_b32_e32 v2, 0
	ds_write_b8 v2, v35 offset:3
.LBB5_79:
	s_or_b64 exec, exec, s[18:19]
	v_mov_b32_e32 v2, 0
	s_waitcnt lgkmcnt(0)
	s_barrier
	ds_read_u8 v2, v2 offset:3
	v_cndmask_b32_e64 v3, v24, v23, s[4:5]
	v_cmp_ne_u32_e32 vcc, 0, v0
	s_movk_i32 s2, 0xff
	s_nop 0
	v_cndmask_b32_e32 v3, 0, v3, vcc
	v_add_u16_e32 v3, v3, v8
	s_waitcnt lgkmcnt(0)
	v_add_u16_e32 v2, v3, v2
	v_add_u16_e32 v3, v2, v17
	v_add_u16_sdwa v4, v3, v8 dst_sel:DWORD dst_unused:UNUSED_PAD src0_sel:DWORD src1_sel:WORD_1
	v_add_u16_sdwa v5, v4, v8 dst_sel:DWORD dst_unused:UNUSED_PAD src0_sel:DWORD src1_sel:BYTE_3
	v_add_u16_e32 v6, v5, v9
	v_add_u16_e32 v7, v6, v18
	v_add_u16_sdwa v17, v7, v9 dst_sel:DWORD dst_unused:UNUSED_PAD src0_sel:DWORD src1_sel:WORD_1
	v_add_u16_sdwa v18, v17, v9 dst_sel:DWORD dst_unused:UNUSED_PAD src0_sel:DWORD src1_sel:BYTE_3
	;; [unrolled: 4-line block ×3, first 2 shown]
	v_add_u16_e32 v26, v25, v11
	v_lshlrev_b16_e32 v3, 8, v3
	v_add_u16_e32 v20, v26, v20
	v_bitop3_b16 v2, v2, v3, s2 bitop3:0xec
	v_lshlrev_b16_e32 v3, 8, v5
	v_add_u16_sdwa v27, v20, v11 dst_sel:DWORD dst_unused:UNUSED_PAD src0_sel:DWORD src1_sel:WORD_1
	v_bitop3_b16 v3, v4, v3, s2 bitop3:0xec
	v_add_u16_sdwa v28, v27, v11 dst_sel:DWORD dst_unused:UNUSED_PAD src0_sel:DWORD src1_sel:BYTE_3
	v_lshlrev_b32_e32 v3, 16, v3
	v_lshlrev_b16_e32 v4, 8, v18
	v_add_u16_e32 v29, v28, v12
	v_or_b32_sdwa v2, v2, v3 dst_sel:DWORD dst_unused:UNUSED_PAD src0_sel:WORD_0 src1_sel:DWORD
	v_lshlrev_b16_e32 v3, 8, v7
	v_bitop3_b16 v4, v17, v4, s2 bitop3:0xec
	v_add_u16_e32 v21, v29, v21
	v_bitop3_b16 v3, v6, v3, s2 bitop3:0xec
	v_lshlrev_b32_e32 v4, 16, v4
	v_lshlrev_b16_e32 v5, 8, v25
	v_add_u16_sdwa v30, v21, v12 dst_sel:DWORD dst_unused:UNUSED_PAD src0_sel:DWORD src1_sel:WORD_1
	v_or_b32_sdwa v3, v3, v4 dst_sel:DWORD dst_unused:UNUSED_PAD src0_sel:WORD_0 src1_sel:DWORD
	v_lshlrev_b16_e32 v4, 8, v19
	v_bitop3_b16 v5, v24, v5, s2 bitop3:0xec
	v_add_u16_sdwa v31, v30, v12 dst_sel:DWORD dst_unused:UNUSED_PAD src0_sel:DWORD src1_sel:BYTE_3
	v_bitop3_b16 v4, v23, v4, s2 bitop3:0xec
	v_lshlrev_b32_e32 v5, 16, v5
	v_lshlrev_b16_e32 v6, 8, v28
	v_add_u16_e32 v32, v31, v13
	v_or_b32_sdwa v4, v4, v5 dst_sel:DWORD dst_unused:UNUSED_PAD src0_sel:WORD_0 src1_sel:DWORD
	v_lshlrev_b16_e32 v5, 8, v20
	v_bitop3_b16 v6, v27, v6, s2 bitop3:0xec
	v_add_u16_e32 v22, v32, v22
	v_bitop3_b16 v5, v26, v5, s2 bitop3:0xec
	v_lshlrev_b32_e32 v6, 16, v6
	v_lshlrev_b16_e32 v7, 8, v31
	v_add_u16_sdwa v33, v22, v13 dst_sel:DWORD dst_unused:UNUSED_PAD src0_sel:DWORD src1_sel:WORD_1
	v_or_b32_sdwa v5, v5, v6 dst_sel:DWORD dst_unused:UNUSED_PAD src0_sel:WORD_0 src1_sel:DWORD
	v_lshlrev_b16_e32 v6, 8, v21
	v_bitop3_b16 v7, v30, v7, s2 bitop3:0xec
	v_add_u16_sdwa v34, v33, v13 dst_sel:BYTE_1 dst_unused:UNUSED_PAD src0_sel:DWORD src1_sel:BYTE_3
	v_bitop3_b16 v6, v29, v6, s2 bitop3:0xec
	v_lshlrev_b32_e32 v7, 16, v7
	v_or_b32_sdwa v6, v6, v7 dst_sel:DWORD dst_unused:UNUSED_PAD src0_sel:WORD_0 src1_sel:DWORD
	v_lshlrev_b16_e32 v7, 8, v22
	v_bitop3_b16 v17, v33, v34, s2 bitop3:0xec
	v_bitop3_b16 v7, v32, v7, s2 bitop3:0xec
	v_lshlrev_b32_e32 v17, 16, v17
	v_or_b32_sdwa v7, v7, v17 dst_sel:DWORD dst_unused:UNUSED_PAD src0_sel:WORD_0 src1_sel:DWORD
	s_load_dwordx4 s[4:7], s[0:1], 0x30
	s_branch .LBB5_91
.LBB5_80:
	s_load_dword s2, s[0:1], 0x40
	v_cmp_eq_u32_e32 vcc, 0, v0
	s_waitcnt lgkmcnt(0)
	s_bitcmp1_b32 s2, 0
	s_cselect_b64 s[2:3], -1, 0
	s_and_b64 s[8:9], vcc, s[2:3]
	s_and_saveexec_b64 s[2:3], s[8:9]
	s_cbranch_execz .LBB5_82
; %bb.81:
	v_mov_b32_e32 v2, 0
	global_load_ubyte v2, v2, s[4:5]
	s_mov_b32 s4, 0x3020104
	s_waitcnt vmcnt(0)
	v_add_u16_e32 v2, v2, v8
	v_perm_b32 v8, v2, v8, s4
.LBB5_82:
	s_or_b64 exec, exec, s[2:3]
	v_lshrrev_b32_e32 v5, 8, v8
	v_add_u16_e32 v6, v5, v8
	v_add_u16_sdwa v6, v6, v8 dst_sel:DWORD dst_unused:UNUSED_PAD src0_sel:DWORD src1_sel:WORD_1
	v_add_u16_sdwa v6, v6, v8 dst_sel:DWORD dst_unused:UNUSED_PAD src0_sel:DWORD src1_sel:BYTE_3
	v_lshrrev_b32_e32 v4, 8, v9
	v_add_u16_e32 v6, v6, v9
	v_add_u16_e32 v6, v6, v4
	v_add_u16_sdwa v6, v6, v9 dst_sel:DWORD dst_unused:UNUSED_PAD src0_sel:DWORD src1_sel:WORD_1
	v_add_u16_sdwa v6, v6, v9 dst_sel:DWORD dst_unused:UNUSED_PAD src0_sel:DWORD src1_sel:BYTE_3
	v_add_u16_e32 v7, v6, v10
	v_lshrrev_b32_e32 v6, 8, v10
	v_add_u16_e32 v7, v7, v6
	v_add_u16_sdwa v7, v7, v10 dst_sel:DWORD dst_unused:UNUSED_PAD src0_sel:DWORD src1_sel:WORD_1
	v_add_u16_sdwa v7, v7, v10 dst_sel:DWORD dst_unused:UNUSED_PAD src0_sel:DWORD src1_sel:BYTE_3
	v_lshrrev_b32_e32 v3, 8, v11
	v_add_u16_e32 v7, v7, v11
	v_add_u16_e32 v7, v7, v3
	v_add_u16_sdwa v7, v7, v11 dst_sel:DWORD dst_unused:UNUSED_PAD src0_sel:DWORD src1_sel:WORD_1
	v_add_u16_sdwa v7, v7, v11 dst_sel:DWORD dst_unused:UNUSED_PAD src0_sel:DWORD src1_sel:BYTE_3
	v_add_u16_e32 v17, v7, v12
	v_lshrrev_b32_e32 v7, 8, v12
	v_add_u16_e32 v17, v17, v7
	v_add_u16_sdwa v17, v17, v12 dst_sel:DWORD dst_unused:UNUSED_PAD src0_sel:DWORD src1_sel:WORD_1
	v_add_u16_sdwa v17, v17, v12 dst_sel:DWORD dst_unused:UNUSED_PAD src0_sel:DWORD src1_sel:BYTE_3
	v_lshrrev_b32_e32 v2, 8, v13
	v_add_u16_e32 v17, v17, v13
	v_add_u16_e32 v17, v17, v2
	v_add_u16_sdwa v17, v17, v13 dst_sel:DWORD dst_unused:UNUSED_PAD src0_sel:DWORD src1_sel:WORD_1
	v_add_u16_sdwa v17, v17, v13 dst_sel:DWORD dst_unused:UNUSED_PAD src0_sel:DWORD src1_sel:BYTE_3
	v_mbcnt_hi_u32_b32 v16, -1, v16
	v_and_b32_e32 v18, 15, v16
	v_and_b32_e32 v19, 0xff, v17
	v_cmp_ne_u32_e64 s[2:3], 0, v18
	s_nop 0
	v_mov_b32_dpp v19, v19 row_shr:1 row_mask:0xf bank_mask:0xf
	v_cndmask_b32_e64 v19, 0, v19, s[2:3]
	v_add_u16_e32 v17, v17, v19
	v_and_b32_e32 v19, 0xff, v17
	v_cmp_lt_u32_e64 s[2:3], 1, v18
	s_nop 0
	v_mov_b32_dpp v19, v19 row_shr:2 row_mask:0xf bank_mask:0xf
	v_cndmask_b32_e64 v19, 0, v19, s[2:3]
	v_add_u16_e32 v17, v17, v19
	v_and_b32_e32 v19, 0xff, v17
	v_cmp_lt_u32_e64 s[2:3], 3, v18
	;; [unrolled: 6-line block ×3, first 2 shown]
	s_nop 0
	v_mov_b32_dpp v19, v19 row_shr:8 row_mask:0xf bank_mask:0xf
	v_cndmask_b32_e64 v18, 0, v19, s[2:3]
	v_add_u16_e32 v17, v17, v18
	v_and_b32_e32 v18, 0xff, v17
	v_and_b32_e32 v19, 16, v16
	v_cmp_ne_u32_e64 s[2:3], 0, v19
	v_mov_b32_dpp v18, v18 row_bcast:15 row_mask:0xf bank_mask:0xf
	s_nop 0
	v_cndmask_b32_e64 v18, 0, v18, s[2:3]
	v_add_u16_e32 v17, v17, v18
	v_and_b32_e32 v18, 0xff, v17
	v_cmp_lt_u32_e64 s[2:3], 31, v16
	s_nop 0
	v_mov_b32_dpp v18, v18 row_bcast:31 row_mask:0xf bank_mask:0xf
	v_cndmask_b32_e64 v18, 0, v18, s[2:3]
	v_add_u16_e32 v17, v17, v18
	v_cmp_eq_u32_e64 s[2:3], v0, v15
	s_and_saveexec_b64 s[4:5], s[2:3]
; %bb.83:
	ds_write_b8 v1, v17
; %bb.84:
	s_or_b64 exec, exec, s[4:5]
	v_cmp_gt_u32_e64 s[2:3], 4, v0
	s_waitcnt lgkmcnt(0)
	s_barrier
	s_and_saveexec_b64 s[4:5], s[2:3]
	s_cbranch_execz .LBB5_86
; %bb.85:
	ds_read_u8 v15, v0
	v_and_b32_e32 v18, 3, v16
	v_cmp_ne_u32_e64 s[2:3], 0, v18
	s_waitcnt lgkmcnt(0)
	v_and_b32_e32 v19, 0xff, v15
	s_nop 1
	v_mov_b32_dpp v19, v19 row_shr:1 row_mask:0xf bank_mask:0xf
	v_cndmask_b32_e64 v19, 0, v19, s[2:3]
	v_add_u16_e32 v15, v19, v15
	v_and_b32_e32 v19, 0xff, v15
	v_cmp_lt_u32_e64 s[2:3], 1, v18
	s_nop 0
	v_mov_b32_dpp v19, v19 row_shr:2 row_mask:0xf bank_mask:0xf
	v_cndmask_b32_e64 v18, 0, v19, s[2:3]
	v_add_u16_e32 v15, v15, v18
	ds_write_b8 v0, v15
.LBB5_86:
	s_or_b64 exec, exec, s[4:5]
	v_cmp_lt_u32_e64 s[2:3], 63, v0
	s_waitcnt lgkmcnt(0)
	s_barrier
                                        ; implicit-def: $vgpr15
	s_and_saveexec_b64 s[4:5], s[2:3]
	s_cbranch_execz .LBB5_88
; %bb.87:
	v_add_u32_e32 v1, -1, v1
	ds_read_u8 v15, v1
	s_waitcnt lgkmcnt(0)
	v_add_u16_e32 v17, v15, v17
.LBB5_88:
	s_or_b64 exec, exec, s[4:5]
	v_subrev_co_u32_e64 v1, s[2:3], 1, v16
	v_and_b32_e32 v18, 64, v16
	v_cmp_lt_i32_e64 s[4:5], v1, v18
	s_nop 1
	v_cndmask_b32_e64 v1, v1, v16, s[4:5]
	v_lshlrev_b32_e32 v1, 2, v1
	v_and_b32_e32 v16, 0xff, v17
	ds_bpermute_b32 v1, v1, v16
	s_movk_i32 s4, 0xff
	s_waitcnt lgkmcnt(0)
	v_cndmask_b32_e64 v1, v1, v15, s[2:3]
	v_cndmask_b32_e64 v1, v1, 0, vcc
	v_add_u16_e32 v1, v1, v8
	v_add_u16_e32 v5, v1, v5
	v_add_u16_sdwa v15, v5, v8 dst_sel:DWORD dst_unused:UNUSED_PAD src0_sel:DWORD src1_sel:WORD_1
	v_add_u16_sdwa v8, v15, v8 dst_sel:DWORD dst_unused:UNUSED_PAD src0_sel:DWORD src1_sel:BYTE_3
	v_add_u16_e32 v16, v8, v9
	v_add_u16_e32 v4, v16, v4
	v_add_u16_sdwa v17, v4, v9 dst_sel:DWORD dst_unused:UNUSED_PAD src0_sel:DWORD src1_sel:WORD_1
	v_add_u16_sdwa v9, v17, v9 dst_sel:DWORD dst_unused:UNUSED_PAD src0_sel:DWORD src1_sel:BYTE_3
	v_add_u16_e32 v18, v9, v10
	v_add_u16_e32 v6, v18, v6
	v_add_u16_sdwa v19, v6, v10 dst_sel:DWORD dst_unused:UNUSED_PAD src0_sel:DWORD src1_sel:WORD_1
	v_add_u16_sdwa v10, v19, v10 dst_sel:DWORD dst_unused:UNUSED_PAD src0_sel:DWORD src1_sel:BYTE_3
	v_add_u16_e32 v20, v10, v11
	v_add_u16_e32 v21, v20, v3
	v_add_u16_sdwa v22, v21, v11 dst_sel:DWORD dst_unused:UNUSED_PAD src0_sel:DWORD src1_sel:WORD_1
	v_add_u16_sdwa v11, v22, v11 dst_sel:DWORD dst_unused:UNUSED_PAD src0_sel:DWORD src1_sel:BYTE_3
	v_add_u16_e32 v23, v11, v12
	v_add_u16_e32 v7, v23, v7
	v_add_u16_sdwa v24, v7, v12 dst_sel:DWORD dst_unused:UNUSED_PAD src0_sel:DWORD src1_sel:WORD_1
	v_add_u16_sdwa v12, v24, v12 dst_sel:DWORD dst_unused:UNUSED_PAD src0_sel:DWORD src1_sel:BYTE_3
	v_add_u16_e32 v25, v12, v13
	v_add_u16_e32 v26, v25, v2
	v_lshlrev_b16_e32 v2, 8, v5
	v_bitop3_b16 v1, v1, v2, s4 bitop3:0xec
	v_lshlrev_b16_e32 v2, 8, v8
	v_bitop3_b16 v2, v15, v2, s4 bitop3:0xec
	v_lshlrev_b32_e32 v2, 16, v2
	v_lshlrev_b16_e32 v3, 8, v9
	v_or_b32_sdwa v2, v1, v2 dst_sel:DWORD dst_unused:UNUSED_PAD src0_sel:WORD_0 src1_sel:DWORD
	v_lshlrev_b16_e32 v1, 8, v4
	v_bitop3_b16 v3, v17, v3, s4 bitop3:0xec
	v_bitop3_b16 v1, v16, v1, s4 bitop3:0xec
	v_lshlrev_b32_e32 v3, 16, v3
	v_lshlrev_b16_e32 v4, 8, v10
	v_or_b32_sdwa v3, v1, v3 dst_sel:DWORD dst_unused:UNUSED_PAD src0_sel:WORD_0 src1_sel:DWORD
	v_lshlrev_b16_e32 v1, 8, v6
	v_bitop3_b16 v4, v19, v4, s4 bitop3:0xec
	;; [unrolled: 6-line block ×3, first 2 shown]
	v_bitop3_b16 v1, v20, v1, s4 bitop3:0xec
	v_lshlrev_b32_e32 v5, 16, v5
	v_lshlrev_b16_e32 v6, 8, v12
	v_add_u16_sdwa v27, v26, v13 dst_sel:DWORD dst_unused:UNUSED_PAD src0_sel:DWORD src1_sel:WORD_1
	v_or_b32_sdwa v5, v1, v5 dst_sel:DWORD dst_unused:UNUSED_PAD src0_sel:WORD_0 src1_sel:DWORD
	v_lshlrev_b16_e32 v1, 8, v7
	v_bitop3_b16 v6, v24, v6, s4 bitop3:0xec
	v_add_u16_sdwa v13, v27, v13 dst_sel:BYTE_1 dst_unused:UNUSED_PAD src0_sel:DWORD src1_sel:BYTE_3
	v_bitop3_b16 v1, v23, v1, s4 bitop3:0xec
	v_lshlrev_b32_e32 v6, 16, v6
	v_or_b32_sdwa v6, v1, v6 dst_sel:DWORD dst_unused:UNUSED_PAD src0_sel:WORD_0 src1_sel:DWORD
	v_lshlrev_b16_e32 v1, 8, v26
	v_bitop3_b16 v7, v27, v13, s4 bitop3:0xec
	v_bitop3_b16 v1, v25, v1, s4 bitop3:0xec
	v_lshlrev_b32_e32 v7, 16, v7
	v_or_b32_sdwa v7, v1, v7 dst_sel:DWORD dst_unused:UNUSED_PAD src0_sel:WORD_0 src1_sel:DWORD
	s_and_saveexec_b64 s[2:3], vcc
	s_cbranch_execz .LBB5_90
; %bb.89:
	v_mov_b32_e32 v1, 0
	ds_read_u8 v8, v1 offset:3
	s_waitcnt lgkmcnt(0)
	v_or_b32_e32 v8, 0x200, v8
	global_store_short v1, v8, s[12:13] offset:128 sc1
.LBB5_90:
	s_or_b64 exec, exec, s[2:3]
.LBB5_91:
	s_add_u32 s2, s14, s22
	s_addc_u32 s3, s15, 0
	s_waitcnt lgkmcnt(0)
	s_mov_b64 s[4:5], -1
	s_and_b64 vcc, exec, s[16:17]
	s_barrier
	s_cbranch_vccz .LBB5_93
; %bb.92:
	ds_write2_b64 v14, v[2:3], v[4:5] offset1:1
	ds_write_b64 v14, v[6:7] offset:16
	s_waitcnt lgkmcnt(0)
	s_barrier
	ds_read_u8 v10, v0
	ds_read_u8 v11, v0 offset:256
	ds_read_u8 v12, v0 offset:512
	;; [unrolled: 1-line block ×23, first 2 shown]
	v_mov_b32_e32 v1, 0
	v_lshl_add_u64 v[8:9], s[2:3], 0, v[0:1]
	v_add_co_u32_e32 v8, vcc, 0x1000, v8
	s_waitcnt lgkmcnt(14)
	global_store_byte v0, v10, s[2:3]
	global_store_byte v0, v11, s[2:3] offset:256
	global_store_byte v0, v12, s[2:3] offset:512
	;; [unrolled: 1-line block ×9, first 2 shown]
	s_waitcnt lgkmcnt(13)
	global_store_byte v0, v21, s[2:3] offset:2560
	s_waitcnt lgkmcnt(12)
	global_store_byte v0, v22, s[2:3] offset:2816
	;; [unrolled: 2-line block ×6, first 2 shown]
	v_addc_co_u32_e32 v9, vcc, 0, v9, vcc
	s_waitcnt lgkmcnt(7)
	global_store_byte v[8:9], v27, off
	s_waitcnt lgkmcnt(6)
	global_store_byte v[8:9], v28, off offset:256
	s_waitcnt lgkmcnt(5)
	global_store_byte v[8:9], v29, off offset:512
	;; [unrolled: 2-line block ×7, first 2 shown]
	s_mov_b64 s[4:5], 0
.LBB5_93:
	s_andn2_b64 vcc, exec, s[4:5]
	s_cbranch_vccnz .LBB5_150
; %bb.94:
	ds_write2_b64 v14, v[2:3], v[4:5] offset1:1
	ds_write_b64 v14, v[6:7] offset:16
	s_waitcnt lgkmcnt(0)
	s_barrier
	ds_read_u8 v7, v0
	ds_read_u8 v6, v0 offset:256
	ds_read_u8 v9, v0 offset:512
	;; [unrolled: 1-line block ×23, first 2 shown]
	v_mov_b32_e32 v1, 0
	v_lshl_add_u64 v[2:3], s[2:3], 0, v[0:1]
	v_cmp_gt_u32_e32 vcc, s20, v0
	s_and_saveexec_b64 s[2:3], vcc
	s_cbranch_execz .LBB5_96
; %bb.95:
	s_waitcnt lgkmcnt(14)
	global_store_byte v[2:3], v7, off
.LBB5_96:
	s_or_b64 exec, exec, s[2:3]
	v_or_b32_e32 v29, 0x100, v0
	v_cmp_gt_u32_e32 vcc, s20, v29
	s_and_saveexec_b64 s[2:3], vcc
	s_cbranch_execz .LBB5_98
; %bb.97:
	s_waitcnt lgkmcnt(14)
	global_store_byte v[2:3], v6, off offset:256
.LBB5_98:
	s_or_b64 exec, exec, s[2:3]
	v_or_b32_e32 v29, 0x200, v0
	v_cmp_gt_u32_e32 vcc, s20, v29
	s_and_saveexec_b64 s[2:3], vcc
	s_cbranch_execz .LBB5_100
; %bb.99:
	s_waitcnt lgkmcnt(14)
	global_store_byte v[2:3], v9, off offset:512
.LBB5_100:
	;; [unrolled: 9-line block ×15, first 2 shown]
	s_or_b64 exec, exec, s[2:3]
	v_or_b32_e32 v29, 0x1000, v0
	v_cmp_gt_u32_e32 vcc, s20, v29
	s_and_saveexec_b64 s[2:3], vcc
	s_cbranch_execz .LBB5_128
; %bb.127:
	v_add_co_u32_e32 v30, vcc, 0x1000, v2
	s_nop 1
	v_addc_co_u32_e32 v31, vcc, 0, v3, vcc
	s_waitcnt lgkmcnt(7)
	global_store_byte v[30:31], v25, off
.LBB5_128:
	s_or_b64 exec, exec, s[2:3]
	v_or_b32_e32 v29, 0x1100, v0
	v_cmp_gt_u32_e32 vcc, s20, v29
	s_and_saveexec_b64 s[2:3], vcc
	s_cbranch_execz .LBB5_130
; %bb.129:
	v_add_co_u32_e32 v30, vcc, 0x1000, v2
	s_nop 1
	v_addc_co_u32_e32 v31, vcc, 0, v3, vcc
	s_waitcnt lgkmcnt(6)
	global_store_byte v[30:31], v27, off offset:256
.LBB5_130:
	s_or_b64 exec, exec, s[2:3]
	v_or_b32_e32 v29, 0x1200, v0
	v_cmp_gt_u32_e32 vcc, s20, v29
	s_and_saveexec_b64 s[2:3], vcc
	s_cbranch_execz .LBB5_132
; %bb.131:
	v_add_co_u32_e32 v30, vcc, 0x1000, v2
	s_nop 1
	v_addc_co_u32_e32 v31, vcc, 0, v3, vcc
	s_waitcnt lgkmcnt(5)
	global_store_byte v[30:31], v28, off offset:512
.LBB5_132:
	;; [unrolled: 12-line block ×7, first 2 shown]
	s_or_b64 exec, exec, s[2:3]
	s_load_dword s0, s[0:1], 0x40
	s_waitcnt lgkmcnt(0)
	s_bfe_u32 s0, s0, 0x10008
	s_cmp_eq_u32 s0, 0
	s_cbranch_scc1 .LBB5_150
; %bb.143:
	s_add_u32 s0, s20, -1
	s_addc_u32 s1, s21, -1
	s_mul_i32 s5, s1, 0xaaaaaaab
	s_mul_hi_u32 s8, s0, 0xaaaaaaab
	s_mul_hi_u32 s4, s1, 0xaaaaaaab
	s_add_u32 s5, s5, s8
	s_mul_i32 s3, s0, 0xaaaaaaaa
	s_addc_u32 s4, s4, 0
	s_mul_hi_u32 s2, s0, 0xaaaaaaaa
	s_add_u32 s3, s3, s5
	s_addc_u32 s2, s2, 0
	s_add_u32 s2, s4, s2
	s_addc_u32 s3, 0, 0
	s_mul_i32 s5, s1, 0xaaaaaaaa
	s_mul_hi_u32 s4, s1, 0xaaaaaaaa
	s_add_u32 s2, s5, s2
	s_addc_u32 s3, s4, s3
	s_lshr_b64 s[2:3], s[2:3], 4
	v_cmp_eq_u64_e32 vcc, s[2:3], v[0:1]
	s_and_saveexec_b64 s[2:3], vcc
	s_cbranch_execz .LBB5_150
; %bb.144:
	v_mul_hi_u32_u24_e32 v1, 24, v0
	v_mov_b32_e32 v2, s1
	v_sub_co_u32_e32 v0, vcc, s0, v14
	s_mov_b64 s[0:1], 0
	s_nop 0
	v_subb_co_u32_e32 v1, vcc, v2, v1, vcc
	v_cmp_lt_i64_e32 vcc, 11, v[0:1]
	s_mov_b64 s[10:11], 0
	s_mov_b64 s[8:9], 0
	;; [unrolled: 1-line block ×3, first 2 shown]
	s_and_saveexec_b64 s[2:3], vcc
	s_xor_b64 s[2:3], exec, s[2:3]
	s_cbranch_execnz .LBB5_151
; %bb.145:
	s_andn2_saveexec_b64 s[2:3], s[2:3]
	s_cbranch_execnz .LBB5_196
.LBB5_146:
	s_or_b64 exec, exec, s[2:3]
	s_and_saveexec_b64 s[2:3], s[10:11]
	s_cbranch_execnz .LBB5_213
.LBB5_147:
	s_or_b64 exec, exec, s[2:3]
	s_and_saveexec_b64 s[2:3], s[8:9]
	s_cbranch_execnz .LBB5_214
.LBB5_148:
	s_or_b64 exec, exec, s[2:3]
	s_and_saveexec_b64 s[2:3], s[4:5]
	s_xor_b64 s[2:3], exec, s[2:3]
	s_cbranch_execnz .LBB5_215
.LBB5_149:
	s_or_b64 exec, exec, s[2:3]
	s_and_b64 exec, exec, s[0:1]
	s_cbranch_execnz .LBB5_216
.LBB5_150:
	s_endpgm
.LBB5_151:
	v_cmp_lt_i64_e32 vcc, 17, v[0:1]
	s_and_saveexec_b64 s[12:13], vcc
	s_xor_b64 s[12:13], exec, s[12:13]
	s_cbranch_execz .LBB5_173
; %bb.152:
	v_cmp_lt_i64_e32 vcc, 20, v[0:1]
	s_and_saveexec_b64 s[14:15], vcc
	s_xor_b64 s[14:15], exec, s[14:15]
	s_cbranch_execz .LBB5_162
; %bb.153:
	v_cmp_lt_i64_e32 vcc, 21, v[0:1]
	s_mov_b64 s[16:17], 0
	s_and_saveexec_b64 s[4:5], vcc
	s_xor_b64 s[4:5], exec, s[4:5]
	s_cbranch_execz .LBB5_159
; %bb.154:
	v_cmp_lt_i64_e32 vcc, 22, v[0:1]
	s_and_saveexec_b64 s[16:17], vcc
	s_xor_b64 s[16:17], exec, s[16:17]
	s_cbranch_execz .LBB5_156
; %bb.155:
	v_mov_b32_e32 v2, 0
	global_store_byte v2, v5, s[6:7]
.LBB5_156:
	s_or_saveexec_b64 s[16:17], s[16:17]
	s_mov_b64 s[18:19], 0
	s_xor_b64 exec, exec, s[16:17]
; %bb.157:
	s_mov_b64 s[18:19], exec
; %bb.158:
	s_or_b64 exec, exec, s[16:17]
	s_and_b64 s[16:17], s[18:19], exec
.LBB5_159:
	s_andn2_saveexec_b64 s[4:5], s[4:5]
; %bb.160:
	s_mov_b64 s[8:9], exec
; %bb.161:
	s_or_b64 exec, exec, s[4:5]
	s_and_b64 s[4:5], s[16:17], exec
	s_and_b64 s[8:9], s[8:9], exec
                                        ; implicit-def: $vgpr28
                                        ; implicit-def: $vgpr26
.LBB5_162:
	s_andn2_saveexec_b64 s[14:15], s[14:15]
	s_cbranch_execz .LBB5_172
; %bb.163:
	v_cmp_lt_i64_e32 vcc, 18, v[0:1]
	s_mov_b64 s[16:17], 0
	s_and_saveexec_b64 s[10:11], vcc
	s_xor_b64 s[10:11], exec, s[10:11]
	s_cbranch_execz .LBB5_169
; %bb.164:
	v_cmp_lt_i64_e32 vcc, 19, v[0:1]
	s_and_saveexec_b64 s[18:19], vcc
	s_xor_b64 s[18:19], exec, s[18:19]
; %bb.165:
	s_mov_b64 s[16:17], exec
                                        ; implicit-def: $vgpr26
; %bb.166:
	s_andn2_saveexec_b64 s[18:19], s[18:19]
	s_cbranch_execz .LBB5_168
; %bb.167:
	v_mov_b32_e32 v2, 0
	global_store_byte v2, v26, s[6:7]
.LBB5_168:
	s_or_b64 exec, exec, s[18:19]
	s_and_b64 s[16:17], s[16:17], exec
                                        ; implicit-def: $vgpr28
.LBB5_169:
	s_andn2_saveexec_b64 s[10:11], s[10:11]
	s_cbranch_execz .LBB5_171
; %bb.170:
	v_mov_b32_e32 v2, 0
	global_store_byte v2, v28, s[6:7]
.LBB5_171:
	s_or_b64 exec, exec, s[10:11]
	s_and_b64 s[10:11], s[16:17], exec
.LBB5_172:
	s_or_b64 exec, exec, s[14:15]
	s_and_b64 s[4:5], s[4:5], exec
	s_and_b64 s[8:9], s[8:9], exec
	;; [unrolled: 1-line block ×3, first 2 shown]
                                        ; implicit-def: $vgpr19
                                        ; implicit-def: $vgpr17
                                        ; implicit-def: $vgpr18
                                        ; implicit-def: $vgpr22
                                        ; implicit-def: $vgpr25
                                        ; implicit-def: $vgpr27
.LBB5_173:
	s_andn2_saveexec_b64 s[12:13], s[12:13]
	s_cbranch_execz .LBB5_195
; %bb.174:
	v_cmp_lt_i64_e32 vcc, 14, v[0:1]
	s_mov_b64 s[14:15], s[4:5]
	s_and_saveexec_b64 s[16:17], vcc
	s_xor_b64 s[16:17], exec, s[16:17]
	s_cbranch_execz .LBB5_184
; %bb.175:
	v_cmp_lt_i64_e32 vcc, 15, v[0:1]
	s_and_saveexec_b64 s[14:15], vcc
	s_xor_b64 s[14:15], exec, s[14:15]
	s_cbranch_execz .LBB5_181
; %bb.176:
	v_cmp_lt_i64_e32 vcc, 16, v[0:1]
	s_and_saveexec_b64 s[18:19], vcc
	s_xor_b64 s[18:19], exec, s[18:19]
	s_cbranch_execz .LBB5_178
; %bb.177:
	v_mov_b32_e32 v2, 0
	global_store_byte v2, v27, s[6:7]
                                        ; implicit-def: $vgpr25
.LBB5_178:
	s_andn2_saveexec_b64 s[18:19], s[18:19]
	s_cbranch_execz .LBB5_180
; %bb.179:
	v_mov_b32_e32 v2, 0
	global_store_byte v2, v25, s[6:7]
.LBB5_180:
	s_or_b64 exec, exec, s[18:19]
.LBB5_181:
	s_or_saveexec_b64 s[14:15], s[14:15]
	s_mov_b64 s[18:19], s[4:5]
	s_xor_b64 exec, exec, s[14:15]
; %bb.182:
	s_or_b64 s[18:19], s[4:5], exec
; %bb.183:
	s_or_b64 exec, exec, s[14:15]
	s_andn2_b64 s[14:15], s[4:5], exec
	s_and_b64 s[18:19], s[18:19], exec
	s_or_b64 s[14:15], s[14:15], s[18:19]
                                        ; implicit-def: $vgpr18
                                        ; implicit-def: $vgpr22
                                        ; implicit-def: $vgpr17
.LBB5_184:
	s_or_saveexec_b64 s[16:17], s[16:17]
	s_mov_b64 s[18:19], s[8:9]
                                        ; implicit-def: $vgpr12
	s_xor_b64 exec, exec, s[16:17]
	s_cbranch_execz .LBB5_194
; %bb.185:
	v_cmp_lt_i64_e32 vcc, 12, v[0:1]
	s_mov_b64 s[20:21], s[8:9]
	s_mov_b64 s[22:23], s[14:15]
	s_and_saveexec_b64 s[18:19], vcc
	s_xor_b64 s[18:19], exec, s[18:19]
	s_cbranch_execz .LBB5_191
; %bb.186:
	v_cmp_lt_i64_e32 vcc, 13, v[0:1]
	s_mov_b64 s[20:21], s[14:15]
	s_and_saveexec_b64 s[22:23], vcc
	s_xor_b64 s[22:23], exec, s[22:23]
; %bb.187:
	s_or_b64 s[20:21], s[14:15], exec
; %bb.188:
	s_or_saveexec_b64 s[22:23], s[22:23]
	s_mov_b64 s[24:25], s[8:9]
	s_xor_b64 exec, exec, s[22:23]
; %bb.189:
	s_or_b64 s[24:25], s[8:9], exec
; %bb.190:
	s_or_b64 exec, exec, s[22:23]
	s_andn2_b64 s[22:23], s[14:15], exec
	s_and_b64 s[20:21], s[20:21], exec
	s_or_b64 s[22:23], s[22:23], s[20:21]
	s_andn2_b64 s[20:21], s[8:9], exec
	s_and_b64 s[24:25], s[24:25], exec
	s_or_b64 s[20:21], s[20:21], s[24:25]
                                        ; implicit-def: $vgpr22
.LBB5_191:
	s_andn2_saveexec_b64 s[18:19], s[18:19]
; %bb.192:
	s_or_b64 s[20:21], s[20:21], exec
	v_mov_b32_e32 v18, v22
; %bb.193:
	s_or_b64 exec, exec, s[18:19]
	s_andn2_b64 s[14:15], s[14:15], exec
	s_and_b64 s[18:19], s[22:23], exec
	s_or_b64 s[14:15], s[14:15], s[18:19]
	s_andn2_b64 s[18:19], s[8:9], exec
	s_and_b64 s[20:21], s[20:21], exec
	s_or_b64 s[18:19], s[18:19], s[20:21]
	v_mov_b32_e32 v19, v17
	v_mov_b32_e32 v12, v18
.LBB5_194:
	s_or_b64 exec, exec, s[16:17]
	s_andn2_b64 s[4:5], s[4:5], exec
	s_and_b64 s[14:15], s[14:15], exec
	s_or_b64 s[4:5], s[4:5], s[14:15]
	s_andn2_b64 s[8:9], s[8:9], exec
	s_and_b64 s[14:15], s[18:19], exec
	s_or_b64 s[8:9], s[8:9], s[14:15]
	v_mov_b32_e32 v13, v19
.LBB5_195:
	s_or_b64 exec, exec, s[12:13]
	s_and_b64 s[4:5], s[4:5], exec
	s_and_b64 s[8:9], s[8:9], exec
	;; [unrolled: 1-line block ×3, first 2 shown]
                                        ; implicit-def: $vgpr20
                                        ; implicit-def: $vgpr24
                                        ; implicit-def: $vgpr21
                                        ; implicit-def: $vgpr23
                                        ; implicit-def: $vgpr15
                                        ; implicit-def: $vgpr16
	s_andn2_saveexec_b64 s[2:3], s[2:3]
	s_cbranch_execz .LBB5_146
.LBB5_196:
	v_cmp_lt_i64_e32 vcc, 5, v[0:1]
	s_mov_b64 s[14:15], -1
	s_mov_b64 s[12:13], s[10:11]
	s_mov_b64 s[16:17], s[8:9]
	;; [unrolled: 1-line block ×3, first 2 shown]
                                        ; implicit-def: $vgpr11
	s_and_saveexec_b64 s[0:1], vcc
	s_cbranch_execz .LBB5_212
; %bb.197:
	v_cmp_lt_i64_e32 vcc, 8, v[0:1]
	s_mov_b64 s[12:13], s[10:11]
                                        ; implicit-def: $vgpr11
	s_and_saveexec_b64 s[14:15], vcc
	s_xor_b64 s[14:15], exec, s[14:15]
	s_cbranch_execz .LBB5_207
; %bb.198:
	v_cmp_lt_i64_e32 vcc, 9, v[0:1]
	s_and_saveexec_b64 s[12:13], vcc
	s_xor_b64 s[12:13], exec, s[12:13]
	s_cbranch_execz .LBB5_204
; %bb.199:
	v_cmp_lt_i64_e32 vcc, 10, v[0:1]
	s_and_saveexec_b64 s[16:17], vcc
	s_xor_b64 s[16:17], exec, s[16:17]
; %bb.200:
                                        ; implicit-def: $vgpr23
; %bb.201:
	s_andn2_saveexec_b64 s[16:17], s[16:17]
; %bb.202:
	v_mov_b32_e32 v21, v23
; %bb.203:
	s_or_b64 exec, exec, s[16:17]
                                        ; implicit-def: $vgpr24
.LBB5_204:
	s_andn2_saveexec_b64 s[12:13], s[12:13]
; %bb.205:
	v_mov_b32_e32 v21, v24
; %bb.206:
	s_or_b64 exec, exec, s[12:13]
	s_or_b64 s[12:13], s[10:11], exec
	v_mov_b32_e32 v11, v21
                                        ; implicit-def: $vgpr20
.LBB5_207:
	s_or_saveexec_b64 s[14:15], s[14:15]
	s_mov_b64 s[16:17], s[8:9]
	s_mov_b64 s[20:21], s[4:5]
	s_xor_b64 exec, exec, s[14:15]
	s_cbranch_execz .LBB5_211
; %bb.208:
	v_cmp_lt_i64_e32 vcc, 6, v[0:1]
	s_mov_b64 s[20:21], -1
	s_mov_b64 s[18:19], s[12:13]
	s_mov_b64 s[16:17], s[8:9]
	s_and_saveexec_b64 s[22:23], vcc
; %bb.209:
	v_cmp_lt_i64_e32 vcc, 7, v[0:1]
	s_andn2_b64 s[18:19], s[12:13], exec
	s_and_b64 s[24:25], vcc, exec
	s_xor_b64 s[20:21], exec, -1
	s_or_b64 s[16:17], s[8:9], exec
	s_or_b64 s[18:19], s[18:19], s[24:25]
; %bb.210:
	s_or_b64 exec, exec, s[22:23]
	s_andn2_b64 s[22:23], s[4:5], exec
	s_and_b64 s[20:21], s[20:21], exec
	s_or_b64 s[20:21], s[22:23], s[20:21]
	s_andn2_b64 s[22:23], s[8:9], exec
	s_and_b64 s[16:17], s[16:17], exec
	s_andn2_b64 s[12:13], s[12:13], exec
	s_and_b64 s[18:19], s[18:19], exec
	s_or_b64 s[16:17], s[22:23], s[16:17]
	s_or_b64 s[12:13], s[12:13], s[18:19]
	v_mov_b32_e32 v11, v20
.LBB5_211:
	s_or_b64 exec, exec, s[14:15]
	s_andn2_b64 s[18:19], s[4:5], exec
	s_and_b64 s[20:21], s[20:21], exec
	s_or_b64 s[18:19], s[18:19], s[20:21]
	s_andn2_b64 s[20:21], s[8:9], exec
	s_and_b64 s[16:17], s[16:17], exec
	s_or_b64 s[16:17], s[20:21], s[16:17]
	s_andn2_b64 s[20:21], s[10:11], exec
	s_and_b64 s[12:13], s[12:13], exec
	s_xor_b64 s[14:15], exec, -1
	s_or_b64 s[12:13], s[20:21], s[12:13]
.LBB5_212:
	s_or_b64 exec, exec, s[0:1]
	s_and_b64 s[0:1], s[14:15], exec
	s_andn2_b64 s[4:5], s[4:5], exec
	s_and_b64 s[14:15], s[18:19], exec
	s_or_b64 s[4:5], s[4:5], s[14:15]
	s_andn2_b64 s[8:9], s[8:9], exec
	s_and_b64 s[14:15], s[16:17], exec
	s_andn2_b64 s[10:11], s[10:11], exec
	s_and_b64 s[12:13], s[12:13], exec
	s_or_b64 s[8:9], s[8:9], s[14:15]
	s_or_b64 s[10:11], s[10:11], s[12:13]
	v_mov_b32_e32 v13, v15
	v_mov_b32_e32 v12, v16
	s_or_b64 exec, exec, s[2:3]
	s_and_saveexec_b64 s[2:3], s[10:11]
	s_cbranch_execz .LBB5_147
.LBB5_213:
	v_mov_b32_e32 v2, 0
	s_andn2_b64 s[8:9], s[8:9], exec
	global_store_byte v2, v11, s[6:7]
	s_or_b64 exec, exec, s[2:3]
	s_and_saveexec_b64 s[2:3], s[8:9]
	s_cbranch_execz .LBB5_148
.LBB5_214:
	v_mov_b32_e32 v2, 0
	global_store_byte v2, v12, s[6:7]
	s_or_b64 exec, exec, s[2:3]
	s_and_saveexec_b64 s[2:3], s[4:5]
	s_xor_b64 s[2:3], exec, s[2:3]
	s_cbranch_execz .LBB5_149
.LBB5_215:
	v_mov_b32_e32 v2, 0
	global_store_byte v2, v13, s[6:7]
	s_or_b64 exec, exec, s[2:3]
	s_and_b64 exec, exec, s[0:1]
	s_cbranch_execz .LBB5_150
.LBB5_216:
	v_cmp_lt_i64_e32 vcc, 2, v[0:1]
	s_and_saveexec_b64 s[0:1], vcc
	s_xor_b64 s[0:1], exec, s[0:1]
	s_cbranch_execz .LBB5_226
; %bb.217:
	v_cmp_lt_i64_e32 vcc, 3, v[0:1]
	s_and_saveexec_b64 s[2:3], vcc
	s_xor_b64 s[2:3], exec, s[2:3]
	s_cbranch_execz .LBB5_223
; %bb.218:
	;; [unrolled: 5-line block ×3, first 2 shown]
	v_mov_b32_e32 v0, 0
	global_store_byte v0, v4, s[6:7]
                                        ; implicit-def: $vgpr8
.LBB5_220:
	s_andn2_saveexec_b64 s[4:5], s[4:5]
	s_cbranch_execz .LBB5_222
; %bb.221:
	v_mov_b32_e32 v0, 0
	global_store_byte v0, v8, s[6:7]
.LBB5_222:
	s_or_b64 exec, exec, s[4:5]
                                        ; implicit-def: $vgpr10
.LBB5_223:
	s_andn2_saveexec_b64 s[2:3], s[2:3]
	s_cbranch_execz .LBB5_225
; %bb.224:
	v_mov_b32_e32 v0, 0
	global_store_byte v0, v10, s[6:7]
.LBB5_225:
	s_or_b64 exec, exec, s[2:3]
                                        ; implicit-def: $vgpr0_vgpr1
                                        ; implicit-def: $vgpr9
                                        ; implicit-def: $vgpr6
                                        ; implicit-def: $vgpr7
.LBB5_226:
	s_andn2_saveexec_b64 s[0:1], s[0:1]
	s_cbranch_execz .LBB5_150
; %bb.227:
	v_cmp_lt_i64_e32 vcc, 1, v[0:1]
	s_and_saveexec_b64 s[0:1], vcc
	s_xor_b64 s[0:1], exec, s[0:1]
	s_cbranch_execz .LBB5_229
; %bb.228:
	v_mov_b32_e32 v0, 0
	global_store_byte v0, v9, s[6:7]
                                        ; implicit-def: $vgpr6
                                        ; implicit-def: $vgpr0_vgpr1
                                        ; implicit-def: $vgpr7
.LBB5_229:
	s_andn2_saveexec_b64 s[0:1], s[0:1]
	s_cbranch_execz .LBB5_150
; %bb.230:
	v_cmp_ne_u64_e32 vcc, 1, v[0:1]
	s_and_saveexec_b64 s[0:1], vcc
	s_xor_b64 s[0:1], exec, s[0:1]
	s_cbranch_execz .LBB5_232
; %bb.231:
	v_mov_b32_e32 v0, 0
	global_store_byte v0, v7, s[6:7]
                                        ; implicit-def: $vgpr6
.LBB5_232:
	s_andn2_saveexec_b64 s[0:1], s[0:1]
	s_cbranch_execz .LBB5_150
; %bb.233:
	v_mov_b32_e32 v0, 0
	global_store_byte v0, v6, s[6:7]
	s_endpgm
	.section	.rodata,"a",@progbits
	.p2align	6, 0x0
	.amdhsa_kernel _ZN7rocprim17ROCPRIM_304000_NS6detail20lookback_scan_kernelILNS1_25lookback_scan_determinismE0ELb0ENS1_19wrapped_scan_configINS0_14default_configEhEEPKhPhSt4plusIhEhhNS1_19lookback_scan_stateIhLb0ELb1EEEEEvT2_T3_mT5_T4_T7_jPT6_SK_bb
		.amdhsa_group_segment_fixed_size 6144
		.amdhsa_private_segment_fixed_size 0
		.amdhsa_kernarg_size 68
		.amdhsa_user_sgpr_count 2
		.amdhsa_user_sgpr_dispatch_ptr 0
		.amdhsa_user_sgpr_queue_ptr 0
		.amdhsa_user_sgpr_kernarg_segment_ptr 1
		.amdhsa_user_sgpr_dispatch_id 0
		.amdhsa_user_sgpr_kernarg_preload_length 0
		.amdhsa_user_sgpr_kernarg_preload_offset 0
		.amdhsa_user_sgpr_private_segment_size 0
		.amdhsa_uses_dynamic_stack 0
		.amdhsa_enable_private_segment 0
		.amdhsa_system_sgpr_workgroup_id_x 1
		.amdhsa_system_sgpr_workgroup_id_y 0
		.amdhsa_system_sgpr_workgroup_id_z 0
		.amdhsa_system_sgpr_workgroup_info 0
		.amdhsa_system_vgpr_workitem_id 0
		.amdhsa_next_free_vgpr 45
		.amdhsa_next_free_sgpr 26
		.amdhsa_accum_offset 48
		.amdhsa_reserve_vcc 1
		.amdhsa_float_round_mode_32 0
		.amdhsa_float_round_mode_16_64 0
		.amdhsa_float_denorm_mode_32 3
		.amdhsa_float_denorm_mode_16_64 3
		.amdhsa_dx10_clamp 1
		.amdhsa_ieee_mode 1
		.amdhsa_fp16_overflow 0
		.amdhsa_tg_split 0
		.amdhsa_exception_fp_ieee_invalid_op 0
		.amdhsa_exception_fp_denorm_src 0
		.amdhsa_exception_fp_ieee_div_zero 0
		.amdhsa_exception_fp_ieee_overflow 0
		.amdhsa_exception_fp_ieee_underflow 0
		.amdhsa_exception_fp_ieee_inexact 0
		.amdhsa_exception_int_div_zero 0
	.end_amdhsa_kernel
	.section	.text._ZN7rocprim17ROCPRIM_304000_NS6detail20lookback_scan_kernelILNS1_25lookback_scan_determinismE0ELb0ENS1_19wrapped_scan_configINS0_14default_configEhEEPKhPhSt4plusIhEhhNS1_19lookback_scan_stateIhLb0ELb1EEEEEvT2_T3_mT5_T4_T7_jPT6_SK_bb,"axG",@progbits,_ZN7rocprim17ROCPRIM_304000_NS6detail20lookback_scan_kernelILNS1_25lookback_scan_determinismE0ELb0ENS1_19wrapped_scan_configINS0_14default_configEhEEPKhPhSt4plusIhEhhNS1_19lookback_scan_stateIhLb0ELb1EEEEEvT2_T3_mT5_T4_T7_jPT6_SK_bb,comdat
.Lfunc_end5:
	.size	_ZN7rocprim17ROCPRIM_304000_NS6detail20lookback_scan_kernelILNS1_25lookback_scan_determinismE0ELb0ENS1_19wrapped_scan_configINS0_14default_configEhEEPKhPhSt4plusIhEhhNS1_19lookback_scan_stateIhLb0ELb1EEEEEvT2_T3_mT5_T4_T7_jPT6_SK_bb, .Lfunc_end5-_ZN7rocprim17ROCPRIM_304000_NS6detail20lookback_scan_kernelILNS1_25lookback_scan_determinismE0ELb0ENS1_19wrapped_scan_configINS0_14default_configEhEEPKhPhSt4plusIhEhhNS1_19lookback_scan_stateIhLb0ELb1EEEEEvT2_T3_mT5_T4_T7_jPT6_SK_bb
                                        ; -- End function
	.set _ZN7rocprim17ROCPRIM_304000_NS6detail20lookback_scan_kernelILNS1_25lookback_scan_determinismE0ELb0ENS1_19wrapped_scan_configINS0_14default_configEhEEPKhPhSt4plusIhEhhNS1_19lookback_scan_stateIhLb0ELb1EEEEEvT2_T3_mT5_T4_T7_jPT6_SK_bb.num_vgpr, 45
	.set _ZN7rocprim17ROCPRIM_304000_NS6detail20lookback_scan_kernelILNS1_25lookback_scan_determinismE0ELb0ENS1_19wrapped_scan_configINS0_14default_configEhEEPKhPhSt4plusIhEhhNS1_19lookback_scan_stateIhLb0ELb1EEEEEvT2_T3_mT5_T4_T7_jPT6_SK_bb.num_agpr, 0
	.set _ZN7rocprim17ROCPRIM_304000_NS6detail20lookback_scan_kernelILNS1_25lookback_scan_determinismE0ELb0ENS1_19wrapped_scan_configINS0_14default_configEhEEPKhPhSt4plusIhEhhNS1_19lookback_scan_stateIhLb0ELb1EEEEEvT2_T3_mT5_T4_T7_jPT6_SK_bb.numbered_sgpr, 26
	.set _ZN7rocprim17ROCPRIM_304000_NS6detail20lookback_scan_kernelILNS1_25lookback_scan_determinismE0ELb0ENS1_19wrapped_scan_configINS0_14default_configEhEEPKhPhSt4plusIhEhhNS1_19lookback_scan_stateIhLb0ELb1EEEEEvT2_T3_mT5_T4_T7_jPT6_SK_bb.num_named_barrier, 0
	.set _ZN7rocprim17ROCPRIM_304000_NS6detail20lookback_scan_kernelILNS1_25lookback_scan_determinismE0ELb0ENS1_19wrapped_scan_configINS0_14default_configEhEEPKhPhSt4plusIhEhhNS1_19lookback_scan_stateIhLb0ELb1EEEEEvT2_T3_mT5_T4_T7_jPT6_SK_bb.private_seg_size, 0
	.set _ZN7rocprim17ROCPRIM_304000_NS6detail20lookback_scan_kernelILNS1_25lookback_scan_determinismE0ELb0ENS1_19wrapped_scan_configINS0_14default_configEhEEPKhPhSt4plusIhEhhNS1_19lookback_scan_stateIhLb0ELb1EEEEEvT2_T3_mT5_T4_T7_jPT6_SK_bb.uses_vcc, 1
	.set _ZN7rocprim17ROCPRIM_304000_NS6detail20lookback_scan_kernelILNS1_25lookback_scan_determinismE0ELb0ENS1_19wrapped_scan_configINS0_14default_configEhEEPKhPhSt4plusIhEhhNS1_19lookback_scan_stateIhLb0ELb1EEEEEvT2_T3_mT5_T4_T7_jPT6_SK_bb.uses_flat_scratch, 0
	.set _ZN7rocprim17ROCPRIM_304000_NS6detail20lookback_scan_kernelILNS1_25lookback_scan_determinismE0ELb0ENS1_19wrapped_scan_configINS0_14default_configEhEEPKhPhSt4plusIhEhhNS1_19lookback_scan_stateIhLb0ELb1EEEEEvT2_T3_mT5_T4_T7_jPT6_SK_bb.has_dyn_sized_stack, 0
	.set _ZN7rocprim17ROCPRIM_304000_NS6detail20lookback_scan_kernelILNS1_25lookback_scan_determinismE0ELb0ENS1_19wrapped_scan_configINS0_14default_configEhEEPKhPhSt4plusIhEhhNS1_19lookback_scan_stateIhLb0ELb1EEEEEvT2_T3_mT5_T4_T7_jPT6_SK_bb.has_recursion, 0
	.set _ZN7rocprim17ROCPRIM_304000_NS6detail20lookback_scan_kernelILNS1_25lookback_scan_determinismE0ELb0ENS1_19wrapped_scan_configINS0_14default_configEhEEPKhPhSt4plusIhEhhNS1_19lookback_scan_stateIhLb0ELb1EEEEEvT2_T3_mT5_T4_T7_jPT6_SK_bb.has_indirect_call, 0
	.section	.AMDGPU.csdata,"",@progbits
; Kernel info:
; codeLenInByte = 8976
; TotalNumSgprs: 32
; NumVgprs: 45
; NumAgprs: 0
; TotalNumVgprs: 45
; ScratchSize: 0
; MemoryBound: 0
; FloatMode: 240
; IeeeMode: 1
; LDSByteSize: 6144 bytes/workgroup (compile time only)
; SGPRBlocks: 3
; VGPRBlocks: 5
; NumSGPRsForWavesPerEU: 32
; NumVGPRsForWavesPerEU: 45
; AccumOffset: 48
; Occupancy: 8
; WaveLimiterHint : 1
; COMPUTE_PGM_RSRC2:SCRATCH_EN: 0
; COMPUTE_PGM_RSRC2:USER_SGPR: 2
; COMPUTE_PGM_RSRC2:TRAP_HANDLER: 0
; COMPUTE_PGM_RSRC2:TGID_X_EN: 1
; COMPUTE_PGM_RSRC2:TGID_Y_EN: 0
; COMPUTE_PGM_RSRC2:TGID_Z_EN: 0
; COMPUTE_PGM_RSRC2:TIDIG_COMP_CNT: 0
; COMPUTE_PGM_RSRC3_GFX90A:ACCUM_OFFSET: 11
; COMPUTE_PGM_RSRC3_GFX90A:TG_SPLIT: 0
	.section	.text._ZN7rocprim17ROCPRIM_304000_NS6detail16transform_kernelINS1_24wrapped_transform_configINS0_14default_configEhEEhPhS6_NS0_8identityIhEEEEvT1_mT2_T3_,"axG",@progbits,_ZN7rocprim17ROCPRIM_304000_NS6detail16transform_kernelINS1_24wrapped_transform_configINS0_14default_configEhEEhPhS6_NS0_8identityIhEEEEvT1_mT2_T3_,comdat
	.protected	_ZN7rocprim17ROCPRIM_304000_NS6detail16transform_kernelINS1_24wrapped_transform_configINS0_14default_configEhEEhPhS6_NS0_8identityIhEEEEvT1_mT2_T3_ ; -- Begin function _ZN7rocprim17ROCPRIM_304000_NS6detail16transform_kernelINS1_24wrapped_transform_configINS0_14default_configEhEEhPhS6_NS0_8identityIhEEEEvT1_mT2_T3_
	.globl	_ZN7rocprim17ROCPRIM_304000_NS6detail16transform_kernelINS1_24wrapped_transform_configINS0_14default_configEhEEhPhS6_NS0_8identityIhEEEEvT1_mT2_T3_
	.p2align	8
	.type	_ZN7rocprim17ROCPRIM_304000_NS6detail16transform_kernelINS1_24wrapped_transform_configINS0_14default_configEhEEhPhS6_NS0_8identityIhEEEEvT1_mT2_T3_,@function
_ZN7rocprim17ROCPRIM_304000_NS6detail16transform_kernelINS1_24wrapped_transform_configINS0_14default_configEhEEhPhS6_NS0_8identityIhEEEEvT1_mT2_T3_: ; @_ZN7rocprim17ROCPRIM_304000_NS6detail16transform_kernelINS1_24wrapped_transform_configINS0_14default_configEhEEhPhS6_NS0_8identityIhEEEEvT1_mT2_T3_
; %bb.0:
	s_load_dword s3, s[0:1], 0x20
	s_load_dwordx4 s[4:7], s[0:1], 0x0
	s_load_dwordx2 s[14:15], s[0:1], 0x10
	s_lshl_b32 s20, s2, 10
	v_mov_b32_e32 v1, 0
	s_waitcnt lgkmcnt(0)
	s_add_i32 s3, s3, -1
	s_add_u32 s0, s4, s20
	s_addc_u32 s1, s5, 0
	s_cmp_lg_u32 s2, s3
	v_lshl_add_u64 v[2:3], s[0:1], 0, v[0:1]
	s_cbranch_scc0 .LBB6_2
; %bb.1:
	global_load_ubyte v5, v[2:3], off
	global_load_ubyte v8, v[2:3], off offset:128
	global_load_ubyte v9, v[2:3], off offset:256
	;; [unrolled: 1-line block ×7, first 2 shown]
	s_add_u32 s2, s14, s20
	s_addc_u32 s3, s15, 0
	v_lshl_add_u64 v[6:7], s[2:3], 0, v[0:1]
	s_mov_b64 s[16:17], -1
	s_waitcnt vmcnt(7)
	global_store_byte v[6:7], v5, off
	s_waitcnt vmcnt(7)
	global_store_byte v[6:7], v8, off offset:128
	s_waitcnt vmcnt(7)
	global_store_byte v[6:7], v9, off offset:256
	;; [unrolled: 2-line block ×6, first 2 shown]
	s_cbranch_execz .LBB6_3
	s_branch .LBB6_34
.LBB6_2:
	s_mov_b64 s[16:17], 0
                                        ; implicit-def: $vgpr4
.LBB6_3:
	s_sub_i32 s18, s6, s20
	v_cmp_gt_u32_e32 vcc, s18, v0
	v_mov_b32_e32 v12, 0
	v_mov_b32_e32 v13, 0
	;; [unrolled: 1-line block ×7, first 2 shown]
	s_and_saveexec_b64 s[0:1], vcc
	s_cbranch_execz .LBB6_5
; %bb.4:
	global_load_ubyte v13, v[2:3], off
	v_mov_b32_e32 v14, 0
	v_mov_b32_e32 v8, 0
	;; [unrolled: 1-line block ×5, first 2 shown]
.LBB6_5:
	s_or_b64 exec, exec, s[0:1]
	s_waitcnt vmcnt(7)
	v_or_b32_e32 v4, 0x80, v0
	v_cmp_gt_u32_e64 s[0:1], s18, v4
	v_mov_b32_e32 v15, v12
	s_and_saveexec_b64 s[2:3], s[0:1]
	s_cbranch_execz .LBB6_7
; %bb.6:
	global_load_ubyte v15, v[2:3], off offset:128
.LBB6_7:
	s_or_b64 exec, exec, s[2:3]
	v_or_b32_e32 v4, 0x100, v0
	v_cmp_gt_u32_e64 s[2:3], s18, v4
	s_and_saveexec_b64 s[4:5], s[2:3]
	s_cbranch_execz .LBB6_9
; %bb.8:
	global_load_ubyte v12, v[2:3], off offset:256
.LBB6_9:
	s_or_b64 exec, exec, s[4:5]
	v_or_b32_e32 v4, 0x180, v0
	v_cmp_gt_u32_e64 s[4:5], s18, v4
	;; [unrolled: 8-line block ×6, first 2 shown]
	s_and_saveexec_b64 s[18:19], s[12:13]
	s_cbranch_execz .LBB6_19
; %bb.18:
	global_load_ubyte v11, v[2:3], off offset:896
.LBB6_19:
	s_or_b64 exec, exec, s[18:19]
	s_mov_b32 s18, 0xffff
	s_waitcnt vmcnt(0)
	v_and_b32_sdwa v2, s18, v13 dst_sel:DWORD dst_unused:UNUSED_PAD src0_sel:DWORD src1_sel:BYTE_0
	s_add_u32 s18, s14, s20
	s_addc_u32 s19, s15, 0
	v_mov_b32_e32 v5, 0
	v_cndmask_b32_e32 v4, 0, v2, vcc
	v_lshl_add_u64 v[2:3], s[18:19], 0, v[0:1]
	s_and_saveexec_b64 s[18:19], vcc
	s_cbranch_execz .LBB6_21
; %bb.20:
	global_store_byte v[2:3], v4, off
.LBB6_21:
	s_or_b64 exec, exec, s[18:19]
	s_mov_b32 s18, 0xc0c0004
	v_perm_b32 v6, v13, v15, s18
	v_perm_b32 v7, v12, v14, s18
	v_lshl_or_b32 v16, v7, 16, v6
	v_cndmask_b32_e64 v17, v4, v16, s[0:1]
	s_and_saveexec_b64 s[18:19], s[0:1]
	s_cbranch_execz .LBB6_23
; %bb.22:
	v_lshrrev_b32_e32 v6, 8, v17
	global_store_byte v[2:3], v6, off offset:128
.LBB6_23:
	s_or_b64 exec, exec, s[18:19]
	s_movk_i32 s0, 0xff00
	s_mov_b64 vcc, s[2:3]
	v_bitop3_b16 v18, v4, v17, s0 bitop3:0xf8
	v_lshrrev_b64 v[6:7], 24, v[4:5]
	v_mov_b32_e32 v5, 8
	v_lshrrev_b32_sdwa v5, v5, v17 dst_sel:BYTE_1 dst_unused:UNUSED_PAD src0_sel:DWORD src1_sel:DWORD
	v_cndmask_b32_sdwa v7, v18, v16, vcc dst_sel:DWORD dst_unused:UNUSED_PAD src0_sel:WORD_0 src1_sel:DWORD
	s_and_saveexec_b64 s[0:1], s[2:3]
	s_cbranch_execz .LBB6_25
; %bb.24:
	global_store_byte_d16_hi v[2:3], v7, off offset:256
.LBB6_25:
	s_or_b64 exec, exec, s[0:1]
	s_mov_b32 s0, 0xc0c0006
	v_or_b32_e32 v4, v4, v5
	v_perm_b32 v6, v7, v6, s0
	v_and_b32_e32 v4, 0xffff, v4
	s_mov_b32 s0, 0xc0c0004
	v_lshl_or_b32 v4, v6, 16, v4
	v_perm_b32 v5, v13, v15, s0
	v_perm_b32 v6, v12, v14, s0
	v_lshl_or_b32 v5, v6, 16, v5
	v_cndmask_b32_e64 v4, v4, v5, s[4:5]
	v_perm_b32 v5, v8, v9, s0
	v_perm_b32 v6, v10, v11, s0
	v_lshl_or_b32 v5, v6, 16, v5
	s_and_saveexec_b64 s[0:1], s[4:5]
	s_cbranch_execz .LBB6_27
; %bb.26:
	v_lshrrev_b32_e32 v4, 24, v4
	global_store_byte v[2:3], v4, off offset:384
.LBB6_27:
	s_or_b64 exec, exec, s[0:1]
	v_cndmask_b32_e64 v5, 0, v5, s[6:7]
	s_and_saveexec_b64 s[0:1], s[6:7]
	s_cbranch_execz .LBB6_29
; %bb.28:
	global_store_byte v[2:3], v5, off offset:512
.LBB6_29:
	s_or_b64 exec, exec, s[0:1]
	s_mov_b32 s0, 0xc0c0004
	v_perm_b32 v4, v8, v9, s0
	v_perm_b32 v6, v10, v11, s0
	v_lshl_or_b32 v4, v6, 16, v4
	s_mov_b64 vcc, s[8:9]
	v_cndmask_b32_sdwa v4, v5, v4, vcc dst_sel:DWORD dst_unused:UNUSED_PAD src0_sel:BYTE_0 src1_sel:DWORD
	v_lshrrev_b32_e32 v6, 8, v4
	s_and_saveexec_b64 s[0:1], s[8:9]
	s_cbranch_execnz .LBB6_37
; %bb.30:
	s_or_b64 exec, exec, s[0:1]
	s_and_saveexec_b64 s[0:1], s[10:11]
	s_cbranch_execnz .LBB6_38
.LBB6_31:
	s_or_b64 exec, exec, s[0:1]
                                        ; implicit-def: $vgpr4
	s_and_saveexec_b64 s[0:1], s[12:13]
.LBB6_32:
	s_mov_b32 s2, 0xc0c0004
	v_perm_b32 v2, v8, v9, s2
	v_perm_b32 v3, v10, v11, s2
	v_lshl_or_b32 v2, v3, 16, v2
	v_perm_b32 v3, v5, v6, s2
	v_cndmask_b32_e64 v2, v3, v2, s[12:13]
	v_lshrrev_b32_e32 v4, 24, v2
	s_or_b64 s[16:17], s[16:17], exec
.LBB6_33:
	s_or_b64 exec, exec, s[0:1]
.LBB6_34:
	s_and_saveexec_b64 s[0:1], s[16:17]
	s_cbranch_execnz .LBB6_36
; %bb.35:
	s_endpgm
.LBB6_36:
	s_add_u32 s0, s14, s20
	s_addc_u32 s1, s15, 0
	v_lshl_add_u64 v[0:1], s[0:1], 0, v[0:1]
	s_waitcnt vmcnt(7)
	global_store_byte v[0:1], v4, off offset:896
	s_endpgm
.LBB6_37:
	global_store_byte v[2:3], v6, off offset:640
	s_or_b64 exec, exec, s[0:1]
	s_and_saveexec_b64 s[0:1], s[10:11]
	s_cbranch_execz .LBB6_31
.LBB6_38:
	s_mov_b32 s2, 0xc0c0004
	v_perm_b32 v4, v8, v9, s2
	v_perm_b32 v7, v10, v11, s2
	v_lshl_or_b32 v4, v7, 16, v4
	v_perm_b32 v7, v5, v6, s2
	v_cndmask_b32_e64 v4, v7, v4, s[10:11]
	global_store_byte_d16_hi v[2:3], v4, off offset:768
	s_or_b64 exec, exec, s[0:1]
                                        ; implicit-def: $vgpr4
	s_and_saveexec_b64 s[0:1], s[12:13]
	s_cbranch_execnz .LBB6_32
	s_branch .LBB6_33
	.section	.rodata,"a",@progbits
	.p2align	6, 0x0
	.amdhsa_kernel _ZN7rocprim17ROCPRIM_304000_NS6detail16transform_kernelINS1_24wrapped_transform_configINS0_14default_configEhEEhPhS6_NS0_8identityIhEEEEvT1_mT2_T3_
		.amdhsa_group_segment_fixed_size 0
		.amdhsa_private_segment_fixed_size 0
		.amdhsa_kernarg_size 288
		.amdhsa_user_sgpr_count 2
		.amdhsa_user_sgpr_dispatch_ptr 0
		.amdhsa_user_sgpr_queue_ptr 0
		.amdhsa_user_sgpr_kernarg_segment_ptr 1
		.amdhsa_user_sgpr_dispatch_id 0
		.amdhsa_user_sgpr_kernarg_preload_length 0
		.amdhsa_user_sgpr_kernarg_preload_offset 0
		.amdhsa_user_sgpr_private_segment_size 0
		.amdhsa_uses_dynamic_stack 0
		.amdhsa_enable_private_segment 0
		.amdhsa_system_sgpr_workgroup_id_x 1
		.amdhsa_system_sgpr_workgroup_id_y 0
		.amdhsa_system_sgpr_workgroup_id_z 0
		.amdhsa_system_sgpr_workgroup_info 0
		.amdhsa_system_vgpr_workitem_id 0
		.amdhsa_next_free_vgpr 19
		.amdhsa_next_free_sgpr 21
		.amdhsa_accum_offset 20
		.amdhsa_reserve_vcc 1
		.amdhsa_float_round_mode_32 0
		.amdhsa_float_round_mode_16_64 0
		.amdhsa_float_denorm_mode_32 3
		.amdhsa_float_denorm_mode_16_64 3
		.amdhsa_dx10_clamp 1
		.amdhsa_ieee_mode 1
		.amdhsa_fp16_overflow 0
		.amdhsa_tg_split 0
		.amdhsa_exception_fp_ieee_invalid_op 0
		.amdhsa_exception_fp_denorm_src 0
		.amdhsa_exception_fp_ieee_div_zero 0
		.amdhsa_exception_fp_ieee_overflow 0
		.amdhsa_exception_fp_ieee_underflow 0
		.amdhsa_exception_fp_ieee_inexact 0
		.amdhsa_exception_int_div_zero 0
	.end_amdhsa_kernel
	.section	.text._ZN7rocprim17ROCPRIM_304000_NS6detail16transform_kernelINS1_24wrapped_transform_configINS0_14default_configEhEEhPhS6_NS0_8identityIhEEEEvT1_mT2_T3_,"axG",@progbits,_ZN7rocprim17ROCPRIM_304000_NS6detail16transform_kernelINS1_24wrapped_transform_configINS0_14default_configEhEEhPhS6_NS0_8identityIhEEEEvT1_mT2_T3_,comdat
.Lfunc_end6:
	.size	_ZN7rocprim17ROCPRIM_304000_NS6detail16transform_kernelINS1_24wrapped_transform_configINS0_14default_configEhEEhPhS6_NS0_8identityIhEEEEvT1_mT2_T3_, .Lfunc_end6-_ZN7rocprim17ROCPRIM_304000_NS6detail16transform_kernelINS1_24wrapped_transform_configINS0_14default_configEhEEhPhS6_NS0_8identityIhEEEEvT1_mT2_T3_
                                        ; -- End function
	.set _ZN7rocprim17ROCPRIM_304000_NS6detail16transform_kernelINS1_24wrapped_transform_configINS0_14default_configEhEEhPhS6_NS0_8identityIhEEEEvT1_mT2_T3_.num_vgpr, 19
	.set _ZN7rocprim17ROCPRIM_304000_NS6detail16transform_kernelINS1_24wrapped_transform_configINS0_14default_configEhEEhPhS6_NS0_8identityIhEEEEvT1_mT2_T3_.num_agpr, 0
	.set _ZN7rocprim17ROCPRIM_304000_NS6detail16transform_kernelINS1_24wrapped_transform_configINS0_14default_configEhEEhPhS6_NS0_8identityIhEEEEvT1_mT2_T3_.numbered_sgpr, 21
	.set _ZN7rocprim17ROCPRIM_304000_NS6detail16transform_kernelINS1_24wrapped_transform_configINS0_14default_configEhEEhPhS6_NS0_8identityIhEEEEvT1_mT2_T3_.num_named_barrier, 0
	.set _ZN7rocprim17ROCPRIM_304000_NS6detail16transform_kernelINS1_24wrapped_transform_configINS0_14default_configEhEEhPhS6_NS0_8identityIhEEEEvT1_mT2_T3_.private_seg_size, 0
	.set _ZN7rocprim17ROCPRIM_304000_NS6detail16transform_kernelINS1_24wrapped_transform_configINS0_14default_configEhEEhPhS6_NS0_8identityIhEEEEvT1_mT2_T3_.uses_vcc, 1
	.set _ZN7rocprim17ROCPRIM_304000_NS6detail16transform_kernelINS1_24wrapped_transform_configINS0_14default_configEhEEhPhS6_NS0_8identityIhEEEEvT1_mT2_T3_.uses_flat_scratch, 0
	.set _ZN7rocprim17ROCPRIM_304000_NS6detail16transform_kernelINS1_24wrapped_transform_configINS0_14default_configEhEEhPhS6_NS0_8identityIhEEEEvT1_mT2_T3_.has_dyn_sized_stack, 0
	.set _ZN7rocprim17ROCPRIM_304000_NS6detail16transform_kernelINS1_24wrapped_transform_configINS0_14default_configEhEEhPhS6_NS0_8identityIhEEEEvT1_mT2_T3_.has_recursion, 0
	.set _ZN7rocprim17ROCPRIM_304000_NS6detail16transform_kernelINS1_24wrapped_transform_configINS0_14default_configEhEEhPhS6_NS0_8identityIhEEEEvT1_mT2_T3_.has_indirect_call, 0
	.section	.AMDGPU.csdata,"",@progbits
; Kernel info:
; codeLenInByte = 1196
; TotalNumSgprs: 27
; NumVgprs: 19
; NumAgprs: 0
; TotalNumVgprs: 19
; ScratchSize: 0
; MemoryBound: 0
; FloatMode: 240
; IeeeMode: 1
; LDSByteSize: 0 bytes/workgroup (compile time only)
; SGPRBlocks: 3
; VGPRBlocks: 2
; NumSGPRsForWavesPerEU: 27
; NumVGPRsForWavesPerEU: 19
; AccumOffset: 20
; Occupancy: 8
; WaveLimiterHint : 1
; COMPUTE_PGM_RSRC2:SCRATCH_EN: 0
; COMPUTE_PGM_RSRC2:USER_SGPR: 2
; COMPUTE_PGM_RSRC2:TRAP_HANDLER: 0
; COMPUTE_PGM_RSRC2:TGID_X_EN: 1
; COMPUTE_PGM_RSRC2:TGID_Y_EN: 0
; COMPUTE_PGM_RSRC2:TGID_Z_EN: 0
; COMPUTE_PGM_RSRC2:TIDIG_COMP_CNT: 0
; COMPUTE_PGM_RSRC3_GFX90A:ACCUM_OFFSET: 4
; COMPUTE_PGM_RSRC3_GFX90A:TG_SPLIT: 0
	.section	.text._ZN7rocprim17ROCPRIM_304000_NS6detail18single_scan_kernelILb0ENS1_19wrapped_scan_configINS0_14default_configEhEEPKhPhSt4plusIhEhhEEvT1_mT4_T2_T3_,"axG",@progbits,_ZN7rocprim17ROCPRIM_304000_NS6detail18single_scan_kernelILb0ENS1_19wrapped_scan_configINS0_14default_configEhEEPKhPhSt4plusIhEhhEEvT1_mT4_T2_T3_,comdat
	.protected	_ZN7rocprim17ROCPRIM_304000_NS6detail18single_scan_kernelILb0ENS1_19wrapped_scan_configINS0_14default_configEhEEPKhPhSt4plusIhEhhEEvT1_mT4_T2_T3_ ; -- Begin function _ZN7rocprim17ROCPRIM_304000_NS6detail18single_scan_kernelILb0ENS1_19wrapped_scan_configINS0_14default_configEhEEPKhPhSt4plusIhEhhEEvT1_mT4_T2_T3_
	.globl	_ZN7rocprim17ROCPRIM_304000_NS6detail18single_scan_kernelILb0ENS1_19wrapped_scan_configINS0_14default_configEhEEPKhPhSt4plusIhEhhEEvT1_mT4_T2_T3_
	.p2align	8
	.type	_ZN7rocprim17ROCPRIM_304000_NS6detail18single_scan_kernelILb0ENS1_19wrapped_scan_configINS0_14default_configEhEEPKhPhSt4plusIhEhhEEvT1_mT4_T2_T3_,@function
_ZN7rocprim17ROCPRIM_304000_NS6detail18single_scan_kernelILb0ENS1_19wrapped_scan_configINS0_14default_configEhEEPKhPhSt4plusIhEhhEEvT1_mT4_T2_T3_: ; @_ZN7rocprim17ROCPRIM_304000_NS6detail18single_scan_kernelILb0ENS1_19wrapped_scan_configINS0_14default_configEhEEPKhPhSt4plusIhEhhEEvT1_mT4_T2_T3_
; %bb.0:
	s_load_dwordx4 s[48:51], s[0:1], 0x0
	v_mov_b32_e32 v1, 0
	s_waitcnt lgkmcnt(0)
	global_load_ubyte v10, v1, s[48:49]
	v_lshl_add_u64 v[8:9], s[48:49], 0, v[0:1]
	v_cmp_gt_u32_e64 s[10:11], s50, v0
	s_waitcnt vmcnt(0)
	v_readfirstlane_b32 s2, v10
	s_lshl_b32 s3, s2, 8
	s_or_b32 s2, s2, s3
	s_and_b32 s3, s2, 0xffff
	s_lshl_b32 s2, s2, 16
	s_or_b32 s4, s3, s2
	s_mov_b32 s5, s4
	s_mov_b32 s6, s4
	s_mov_b32 s7, s4
	s_mov_b32 s8, s4
	s_mov_b32 s9, s4
	v_mov_b64_e32 v[2:3], s[4:5]
	v_mov_b64_e32 v[4:5], s[6:7]
	;; [unrolled: 1-line block ×3, first 2 shown]
	s_and_saveexec_b64 s[2:3], s[10:11]
	s_cbranch_execz .LBB7_2
; %bb.1:
	global_load_ubyte v10, v[8:9], off
	v_mov_b32_e32 v2, 0x3020104
	v_mov_b32_e32 v3, s4
	;; [unrolled: 1-line block ×6, first 2 shown]
	s_waitcnt vmcnt(0)
	v_perm_b32 v2, v10, s4, v2
.LBB7_2:
	s_or_b64 exec, exec, s[2:3]
	v_or_b32_e32 v11, 0x100, v0
	v_cmp_gt_u32_e64 s[2:3], s50, v11
	s_and_saveexec_b64 s[4:5], s[2:3]
	s_cbranch_execz .LBB7_4
; %bb.3:
	global_load_ubyte v11, v[8:9], off offset:256
	s_mov_b32 s6, 0x7060004
	s_waitcnt vmcnt(0)
	v_perm_b32 v2, v2, v11, s6
.LBB7_4:
	s_or_b64 exec, exec, s[4:5]
	v_or_b32_e32 v11, 0x200, v0
	v_cmp_gt_u32_e64 s[4:5], s50, v11
	s_and_saveexec_b64 s[6:7], s[4:5]
	s_cbranch_execz .LBB7_6
; %bb.5:
	global_load_ubyte v11, v[8:9], off offset:512
	s_mov_b32 s8, 0x7000504
	s_waitcnt vmcnt(0)
	v_perm_b32 v2, v2, v11, s8
.LBB7_6:
	;; [unrolled: 11-line block ×15, first 2 shown]
	s_or_b64 exec, exec, s[36:37]
	v_or_b32_e32 v11, 0x1000, v0
	v_cmp_gt_u32_e64 s[36:37], s50, v11
	s_and_saveexec_b64 s[38:39], s[36:37]
	s_cbranch_execz .LBB7_34
; %bb.33:
	v_add_co_u32_e32 v12, vcc, 0x1000, v8
	s_mov_b32 s33, 0x3020104
	s_nop 0
	v_addc_co_u32_e32 v13, vcc, 0, v9, vcc
	global_load_ubyte v11, v[12:13], off
	s_waitcnt vmcnt(0)
	v_perm_b32 v6, v11, v6, s33
.LBB7_34:
	s_or_b64 exec, exec, s[38:39]
	v_or_b32_e32 v11, 0x1100, v0
	v_cmp_gt_u32_e64 s[38:39], s50, v11
	s_and_saveexec_b64 s[40:41], s[38:39]
	s_cbranch_execz .LBB7_36
; %bb.35:
	v_add_co_u32_e32 v12, vcc, 0x1000, v8
	s_mov_b32 s33, 0x7060004
	s_nop 0
	v_addc_co_u32_e32 v13, vcc, 0, v9, vcc
	global_load_ubyte v11, v[12:13], off offset:256
	s_waitcnt vmcnt(0)
	v_perm_b32 v6, v6, v11, s33
.LBB7_36:
	s_or_b64 exec, exec, s[40:41]
	v_or_b32_e32 v11, 0x1200, v0
	v_cmp_gt_u32_e64 s[40:41], s50, v11
	s_and_saveexec_b64 s[42:43], s[40:41]
	s_cbranch_execz .LBB7_38
; %bb.37:
	v_add_co_u32_e32 v12, vcc, 0x1000, v8
	s_mov_b32 s33, 0x7000504
	s_nop 0
	v_addc_co_u32_e32 v13, vcc, 0, v9, vcc
	global_load_ubyte v11, v[12:13], off offset:512
	s_waitcnt vmcnt(0)
	v_perm_b32 v6, v6, v11, s33
.LBB7_38:
	;; [unrolled: 14-line block ×7, first 2 shown]
	s_or_b64 exec, exec, s[52:53]
	v_lshrrev_b32_e32 v8, 8, v2
	ds_write_b8 v0, v10
	ds_write_b8 v0, v8 offset:256
	ds_write_b8_d16_hi v0, v2 offset:512
	v_lshrrev_b32_e32 v2, 24, v2
	ds_write_b8 v0, v2 offset:768
	ds_write_b8 v0, v3 offset:1024
	v_lshrrev_b32_e32 v2, 8, v3
	ds_write_b8 v0, v2 offset:1280
	ds_write_b8_d16_hi v0, v3 offset:1536
	v_lshrrev_b32_e32 v2, 24, v3
	ds_write_b8 v0, v2 offset:1792
	ds_write_b8 v0, v4 offset:2048
	v_lshrrev_b32_e32 v2, 8, v4
	;; [unrolled: 6-line block ×5, first 2 shown]
	ds_write_b8 v0, v2 offset:5376
	ds_write_b8_d16_hi v0, v7 offset:5632
	v_lshrrev_b32_e32 v2, 24, v7
	v_mad_u32_u24 v6, v0, 23, v0
	ds_write_b8 v0, v2 offset:5888
	s_waitcnt lgkmcnt(0)
	s_barrier
	ds_read2_b64 v[2:5], v6 offset1:1
	ds_read_b64 v[6:7], v6 offset:16
	s_waitcnt lgkmcnt(0)
	s_barrier
	v_lshrrev_b32_e32 v13, 8, v2
	v_add_u16_e32 v14, v13, v2
	v_add_u16_sdwa v14, v14, v2 dst_sel:DWORD dst_unused:UNUSED_PAD src0_sel:DWORD src1_sel:WORD_1
	v_add_u16_sdwa v14, v14, v2 dst_sel:DWORD dst_unused:UNUSED_PAD src0_sel:DWORD src1_sel:BYTE_3
	v_lshrrev_b32_e32 v12, 8, v3
	v_add_u16_e32 v14, v14, v3
	v_add_u16_e32 v14, v14, v12
	v_add_u16_sdwa v14, v14, v3 dst_sel:DWORD dst_unused:UNUSED_PAD src0_sel:DWORD src1_sel:WORD_1
	v_add_u16_sdwa v14, v14, v3 dst_sel:DWORD dst_unused:UNUSED_PAD src0_sel:DWORD src1_sel:BYTE_3
	v_lshrrev_b32_e32 v11, 8, v4
	v_add_u16_e32 v14, v14, v4
	;; [unrolled: 5-line block ×5, first 2 shown]
	v_add_u16_e32 v14, v14, v8
	v_add_u16_sdwa v14, v14, v7 dst_sel:DWORD dst_unused:UNUSED_PAD src0_sel:DWORD src1_sel:WORD_1
	v_add_u16_sdwa v15, v14, v7 dst_sel:DWORD dst_unused:UNUSED_PAD src0_sel:DWORD src1_sel:BYTE_3
	v_mbcnt_lo_u32_b32 v14, -1, 0
	v_mbcnt_hi_u32_b32 v14, -1, v14
	v_and_b32_e32 v16, 15, v14
	v_and_b32_e32 v17, 0xff, v15
	v_cmp_ne_u32_e32 vcc, 0, v16
	s_nop 0
	v_mov_b32_dpp v17, v17 row_shr:1 row_mask:0xf bank_mask:0xf
	v_cndmask_b32_e32 v17, 0, v17, vcc
	v_add_u16_e32 v15, v17, v15
	v_and_b32_e32 v17, 0xff, v15
	v_cmp_lt_u32_e32 vcc, 1, v16
	s_nop 0
	v_mov_b32_dpp v17, v17 row_shr:2 row_mask:0xf bank_mask:0xf
	v_cndmask_b32_e32 v17, 0, v17, vcc
	v_add_u16_e32 v15, v15, v17
	v_and_b32_e32 v17, 0xff, v15
	v_cmp_lt_u32_e32 vcc, 3, v16
	s_nop 0
	v_mov_b32_dpp v17, v17 row_shr:4 row_mask:0xf bank_mask:0xf
	v_cndmask_b32_e32 v17, 0, v17, vcc
	v_add_u16_e32 v15, v15, v17
	v_and_b32_e32 v17, 0xff, v15
	v_cmp_lt_u32_e32 vcc, 7, v16
	s_nop 0
	v_mov_b32_dpp v17, v17 row_shr:8 row_mask:0xf bank_mask:0xf
	v_cndmask_b32_e32 v16, 0, v17, vcc
	v_add_u16_e32 v15, v15, v16
	v_and_b32_e32 v16, 0xff, v15
	v_and_b32_e32 v17, 16, v14
	v_cmp_ne_u32_e32 vcc, 0, v17
	v_mov_b32_dpp v16, v16 row_bcast:15 row_mask:0xf bank_mask:0xf
	v_lshrrev_b32_e32 v17, 6, v0
	v_cndmask_b32_e32 v16, 0, v16, vcc
	v_add_u16_e32 v15, v15, v16
	v_and_b32_e32 v16, 0xff, v15
	v_cmp_lt_u32_e32 vcc, 31, v14
	s_nop 0
	v_mov_b32_dpp v16, v16 row_bcast:31 row_mask:0xf bank_mask:0xf
	v_cndmask_b32_e32 v16, 0, v16, vcc
	v_add_u16_e32 v15, v15, v16
	v_or_b32_e32 v16, 63, v0
	v_cmp_eq_u32_e32 vcc, v0, v16
	s_and_saveexec_b64 s[52:53], vcc
; %bb.49:
	ds_write_b8 v17, v15
; %bb.50:
	s_or_b64 exec, exec, s[52:53]
	v_cmp_gt_u32_e32 vcc, 4, v0
	s_waitcnt lgkmcnt(0)
	s_barrier
	s_and_saveexec_b64 s[52:53], vcc
	s_cbranch_execz .LBB7_52
; %bb.51:
	ds_read_u8 v16, v0
	v_and_b32_e32 v18, 3, v14
	v_cmp_ne_u32_e32 vcc, 0, v18
	s_waitcnt lgkmcnt(0)
	v_and_b32_e32 v19, 0xff, v16
	s_nop 1
	v_mov_b32_dpp v19, v19 row_shr:1 row_mask:0xf bank_mask:0xf
	v_cndmask_b32_e32 v19, 0, v19, vcc
	v_add_u16_e32 v16, v19, v16
	v_and_b32_e32 v19, 0xff, v16
	v_cmp_lt_u32_e32 vcc, 1, v18
	s_nop 0
	v_mov_b32_dpp v19, v19 row_shr:2 row_mask:0xf bank_mask:0xf
	v_cndmask_b32_e32 v18, 0, v19, vcc
	v_add_u16_e32 v16, v16, v18
	ds_write_b8 v0, v16
.LBB7_52:
	s_or_b64 exec, exec, s[52:53]
	v_mul_u32_u24_e32 v16, 23, v0
	v_cmp_lt_u32_e32 vcc, 63, v0
	s_waitcnt lgkmcnt(0)
	s_barrier
                                        ; implicit-def: $vgpr18
	s_and_saveexec_b64 s[52:53], vcc
	s_cbranch_execz .LBB7_54
; %bb.53:
	v_add_u32_e32 v17, -1, v17
	ds_read_u8 v18, v17
	s_waitcnt lgkmcnt(0)
	v_add_u16_e32 v15, v18, v15
.LBB7_54:
	s_or_b64 exec, exec, s[52:53]
	v_subrev_co_u32_e32 v17, vcc, 1, v14
	v_and_b32_e32 v19, 64, v14
	v_cmp_lt_i32_e64 s[52:53], v17, v19
	v_and_b32_e32 v15, 0xff, v15
	s_movk_i32 s33, 0xff
	v_cndmask_b32_e64 v14, v17, v14, s[52:53]
	v_lshlrev_b32_e32 v14, 2, v14
	ds_bpermute_b32 v14, v14, v15
	v_add_u32_e32 v16, v0, v16
	s_waitcnt lgkmcnt(0)
	s_barrier
	v_cndmask_b32_e32 v14, v14, v18, vcc
	v_cmp_ne_u32_e32 vcc, 0, v0
	s_load_dwordx2 s[0:1], s[0:1], 0x18
	s_nop 0
	v_cndmask_b32_e32 v14, 0, v14, vcc
	v_add_u16_e32 v14, v14, v2
	v_add_u16_e32 v13, v14, v13
	v_add_u16_sdwa v15, v13, v2 dst_sel:DWORD dst_unused:UNUSED_PAD src0_sel:DWORD src1_sel:WORD_1
	v_add_u16_sdwa v2, v15, v2 dst_sel:DWORD dst_unused:UNUSED_PAD src0_sel:DWORD src1_sel:BYTE_3
	v_add_u16_e32 v17, v2, v3
	v_add_u16_e32 v12, v17, v12
	v_add_u16_sdwa v18, v12, v3 dst_sel:DWORD dst_unused:UNUSED_PAD src0_sel:DWORD src1_sel:WORD_1
	v_add_u16_sdwa v3, v18, v3 dst_sel:DWORD dst_unused:UNUSED_PAD src0_sel:DWORD src1_sel:BYTE_3
	;; [unrolled: 4-line block ×4, first 2 shown]
	v_add_u16_e32 v23, v5, v6
	v_add_u16_e32 v9, v23, v9
	v_lshlrev_b16_e32 v2, 8, v2
	v_lshlrev_b16_e32 v3, 8, v3
	;; [unrolled: 1-line block ×4, first 2 shown]
	v_add_u16_sdwa v24, v9, v6 dst_sel:DWORD dst_unused:UNUSED_PAD src0_sel:DWORD src1_sel:WORD_1
	v_lshlrev_b16_e32 v13, 8, v13
	v_bitop3_b16 v2, v15, v2, s33 bitop3:0xec
	v_lshlrev_b16_e32 v12, 8, v12
	v_bitop3_b16 v3, v18, v3, s33 bitop3:0xec
	;; [unrolled: 2-line block ×4, first 2 shown]
	v_add_u16_sdwa v6, v24, v6 dst_sel:DWORD dst_unused:UNUSED_PAD src0_sel:DWORD src1_sel:BYTE_3
	v_bitop3_b16 v13, v14, v13, s33 bitop3:0xec
	v_lshlrev_b32_e32 v2, 16, v2
	v_bitop3_b16 v12, v17, v12, s33 bitop3:0xec
	v_lshlrev_b32_e32 v3, 16, v3
	;; [unrolled: 2-line block ×4, first 2 shown]
	v_add_u16_e32 v25, v6, v7
	v_or_b32_sdwa v2, v13, v2 dst_sel:DWORD dst_unused:UNUSED_PAD src0_sel:WORD_0 src1_sel:DWORD
	v_or_b32_sdwa v3, v12, v3 dst_sel:DWORD dst_unused:UNUSED_PAD src0_sel:WORD_0 src1_sel:DWORD
	;; [unrolled: 1-line block ×4, first 2 shown]
	v_add_u16_e32 v8, v25, v8
	ds_write2_b64 v16, v[2:3], v[4:5] offset1:1
	v_lshlrev_b16_e32 v3, 8, v6
	v_add_u16_sdwa v26, v8, v7 dst_sel:DWORD dst_unused:UNUSED_PAD src0_sel:DWORD src1_sel:WORD_1
	v_lshlrev_b16_e32 v2, 8, v9
	v_bitop3_b16 v3, v24, v3, s33 bitop3:0xec
	v_add_u16_sdwa v7, v26, v7 dst_sel:BYTE_1 dst_unused:UNUSED_PAD src0_sel:DWORD src1_sel:BYTE_3
	v_bitop3_b16 v2, v23, v2, s33 bitop3:0xec
	v_lshlrev_b32_e32 v3, 16, v3
	v_or_b32_sdwa v2, v2, v3 dst_sel:DWORD dst_unused:UNUSED_PAD src0_sel:WORD_0 src1_sel:DWORD
	v_lshlrev_b16_e32 v3, 8, v8
	v_bitop3_b16 v4, v26, v7, s33 bitop3:0xec
	v_bitop3_b16 v3, v25, v3, s33 bitop3:0xec
	v_lshlrev_b32_e32 v4, 16, v4
	v_or_b32_sdwa v3, v3, v4 dst_sel:DWORD dst_unused:UNUSED_PAD src0_sel:WORD_0 src1_sel:DWORD
	ds_write_b64 v16, v[2:3] offset:16
	s_waitcnt lgkmcnt(0)
	s_barrier
	ds_read_u8 v26, v0 offset:256
	ds_read_u8 v25, v0 offset:512
	ds_read_u8 v24, v0 offset:768
	ds_read_u8 v23, v0 offset:1024
	ds_read_u8 v22, v0 offset:1280
	ds_read_u8 v21, v0 offset:1536
	ds_read_u8 v20, v0 offset:1792
	ds_read_u8 v19, v0 offset:2048
	ds_read_u8 v18, v0 offset:2304
	ds_read_u8 v17, v0 offset:2560
	ds_read_u8 v16, v0 offset:2816
	ds_read_u8 v15, v0 offset:3072
	ds_read_u8 v14, v0 offset:3328
	ds_read_u8 v13, v0 offset:3584
	ds_read_u8 v12, v0 offset:3840
	ds_read_u8 v11, v0 offset:4096
	ds_read_u8 v10, v0 offset:4352
	ds_read_u8 v9, v0 offset:4608
	ds_read_u8 v8, v0 offset:4864
	ds_read_u8 v7, v0 offset:5120
	ds_read_u8 v6, v0 offset:5376
	ds_read_u8 v5, v0 offset:5632
	ds_read_u8 v4, v0 offset:5888
	v_lshl_add_u64 v[2:3], s[0:1], 0, v[0:1]
	s_and_saveexec_b64 s[0:1], s[10:11]
	s_cbranch_execnz .LBB7_79
; %bb.55:
	s_or_b64 exec, exec, s[0:1]
	s_and_saveexec_b64 s[0:1], s[2:3]
	s_cbranch_execnz .LBB7_80
.LBB7_56:
	s_or_b64 exec, exec, s[0:1]
	s_and_saveexec_b64 s[0:1], s[4:5]
	s_cbranch_execnz .LBB7_81
.LBB7_57:
	s_or_b64 exec, exec, s[0:1]
	s_and_saveexec_b64 s[0:1], s[6:7]
	s_cbranch_execnz .LBB7_82
.LBB7_58:
	s_or_b64 exec, exec, s[0:1]
	s_and_saveexec_b64 s[0:1], s[8:9]
	s_cbranch_execnz .LBB7_83
.LBB7_59:
	s_or_b64 exec, exec, s[0:1]
	s_and_saveexec_b64 s[0:1], s[12:13]
	s_cbranch_execnz .LBB7_84
.LBB7_60:
	s_or_b64 exec, exec, s[0:1]
	s_and_saveexec_b64 s[0:1], s[14:15]
	s_cbranch_execnz .LBB7_85
.LBB7_61:
	s_or_b64 exec, exec, s[0:1]
	s_and_saveexec_b64 s[0:1], s[16:17]
	s_cbranch_execnz .LBB7_86
.LBB7_62:
	s_or_b64 exec, exec, s[0:1]
	s_and_saveexec_b64 s[0:1], s[18:19]
	s_cbranch_execnz .LBB7_87
.LBB7_63:
	s_or_b64 exec, exec, s[0:1]
	s_and_saveexec_b64 s[0:1], s[20:21]
	s_cbranch_execnz .LBB7_88
.LBB7_64:
	s_or_b64 exec, exec, s[0:1]
	s_and_saveexec_b64 s[0:1], s[22:23]
	s_cbranch_execnz .LBB7_89
.LBB7_65:
	s_or_b64 exec, exec, s[0:1]
	s_and_saveexec_b64 s[0:1], s[24:25]
	s_cbranch_execnz .LBB7_90
.LBB7_66:
	s_or_b64 exec, exec, s[0:1]
	s_and_saveexec_b64 s[0:1], s[26:27]
	s_cbranch_execnz .LBB7_91
.LBB7_67:
	s_or_b64 exec, exec, s[0:1]
	s_and_saveexec_b64 s[0:1], s[28:29]
	s_cbranch_execnz .LBB7_92
.LBB7_68:
	s_or_b64 exec, exec, s[0:1]
	s_and_saveexec_b64 s[0:1], s[30:31]
	s_cbranch_execnz .LBB7_93
.LBB7_69:
	s_or_b64 exec, exec, s[0:1]
	s_and_saveexec_b64 s[0:1], s[34:35]
	s_cbranch_execnz .LBB7_94
.LBB7_70:
	s_or_b64 exec, exec, s[0:1]
	s_and_saveexec_b64 s[0:1], s[36:37]
	s_cbranch_execnz .LBB7_95
.LBB7_71:
	s_or_b64 exec, exec, s[0:1]
	s_and_saveexec_b64 s[0:1], s[38:39]
	s_cbranch_execnz .LBB7_96
.LBB7_72:
	s_or_b64 exec, exec, s[0:1]
	s_and_saveexec_b64 s[0:1], s[40:41]
	s_cbranch_execnz .LBB7_97
.LBB7_73:
	s_or_b64 exec, exec, s[0:1]
	s_and_saveexec_b64 s[0:1], s[42:43]
	s_cbranch_execnz .LBB7_98
.LBB7_74:
	s_or_b64 exec, exec, s[0:1]
	s_and_saveexec_b64 s[0:1], s[44:45]
	s_cbranch_execnz .LBB7_99
.LBB7_75:
	s_or_b64 exec, exec, s[0:1]
	s_and_saveexec_b64 s[0:1], s[46:47]
	s_cbranch_execnz .LBB7_100
.LBB7_76:
	s_or_b64 exec, exec, s[0:1]
	s_and_saveexec_b64 s[0:1], s[48:49]
	s_cbranch_execnz .LBB7_101
.LBB7_77:
	s_or_b64 exec, exec, s[0:1]
	s_and_saveexec_b64 s[0:1], s[50:51]
	s_cbranch_execnz .LBB7_102
.LBB7_78:
	s_endpgm
.LBB7_79:
	ds_read_u8 v0, v0
	s_waitcnt lgkmcnt(0)
	global_store_byte v[2:3], v0, off
	s_or_b64 exec, exec, s[0:1]
	s_and_saveexec_b64 s[0:1], s[2:3]
	s_cbranch_execz .LBB7_56
.LBB7_80:
	s_waitcnt lgkmcnt(14)
	global_store_byte v[2:3], v26, off offset:256
	s_or_b64 exec, exec, s[0:1]
	s_and_saveexec_b64 s[0:1], s[4:5]
	s_cbranch_execz .LBB7_57
.LBB7_81:
	s_waitcnt lgkmcnt(14)
	global_store_byte v[2:3], v25, off offset:512
	s_or_b64 exec, exec, s[0:1]
	s_and_saveexec_b64 s[0:1], s[6:7]
	s_cbranch_execz .LBB7_58
.LBB7_82:
	s_waitcnt lgkmcnt(14)
	global_store_byte v[2:3], v24, off offset:768
	s_or_b64 exec, exec, s[0:1]
	s_and_saveexec_b64 s[0:1], s[8:9]
	s_cbranch_execz .LBB7_59
.LBB7_83:
	s_waitcnt lgkmcnt(14)
	global_store_byte v[2:3], v23, off offset:1024
	s_or_b64 exec, exec, s[0:1]
	s_and_saveexec_b64 s[0:1], s[12:13]
	s_cbranch_execz .LBB7_60
.LBB7_84:
	s_waitcnt lgkmcnt(14)
	global_store_byte v[2:3], v22, off offset:1280
	s_or_b64 exec, exec, s[0:1]
	s_and_saveexec_b64 s[0:1], s[14:15]
	s_cbranch_execz .LBB7_61
.LBB7_85:
	s_waitcnt lgkmcnt(14)
	global_store_byte v[2:3], v21, off offset:1536
	s_or_b64 exec, exec, s[0:1]
	s_and_saveexec_b64 s[0:1], s[16:17]
	s_cbranch_execz .LBB7_62
.LBB7_86:
	s_waitcnt lgkmcnt(14)
	global_store_byte v[2:3], v20, off offset:1792
	s_or_b64 exec, exec, s[0:1]
	s_and_saveexec_b64 s[0:1], s[18:19]
	s_cbranch_execz .LBB7_63
.LBB7_87:
	s_waitcnt lgkmcnt(14)
	global_store_byte v[2:3], v19, off offset:2048
	s_or_b64 exec, exec, s[0:1]
	s_and_saveexec_b64 s[0:1], s[20:21]
	s_cbranch_execz .LBB7_64
.LBB7_88:
	s_waitcnt lgkmcnt(14)
	global_store_byte v[2:3], v18, off offset:2304
	s_or_b64 exec, exec, s[0:1]
	s_and_saveexec_b64 s[0:1], s[22:23]
	s_cbranch_execz .LBB7_65
.LBB7_89:
	s_waitcnt lgkmcnt(13)
	global_store_byte v[2:3], v17, off offset:2560
	s_or_b64 exec, exec, s[0:1]
	s_and_saveexec_b64 s[0:1], s[24:25]
	s_cbranch_execz .LBB7_66
.LBB7_90:
	s_waitcnt lgkmcnt(12)
	global_store_byte v[2:3], v16, off offset:2816
	s_or_b64 exec, exec, s[0:1]
	s_and_saveexec_b64 s[0:1], s[26:27]
	s_cbranch_execz .LBB7_67
.LBB7_91:
	s_waitcnt lgkmcnt(11)
	global_store_byte v[2:3], v15, off offset:3072
	s_or_b64 exec, exec, s[0:1]
	s_and_saveexec_b64 s[0:1], s[28:29]
	s_cbranch_execz .LBB7_68
.LBB7_92:
	s_waitcnt lgkmcnt(10)
	global_store_byte v[2:3], v14, off offset:3328
	s_or_b64 exec, exec, s[0:1]
	s_and_saveexec_b64 s[0:1], s[30:31]
	s_cbranch_execz .LBB7_69
.LBB7_93:
	s_waitcnt lgkmcnt(9)
	global_store_byte v[2:3], v13, off offset:3584
	s_or_b64 exec, exec, s[0:1]
	s_and_saveexec_b64 s[0:1], s[34:35]
	s_cbranch_execz .LBB7_70
.LBB7_94:
	s_waitcnt lgkmcnt(8)
	global_store_byte v[2:3], v12, off offset:3840
	s_or_b64 exec, exec, s[0:1]
	s_and_saveexec_b64 s[0:1], s[36:37]
	s_cbranch_execz .LBB7_71
.LBB7_95:
	v_add_co_u32_e32 v0, vcc, 0x1000, v2
	s_nop 1
	v_addc_co_u32_e32 v1, vcc, 0, v3, vcc
	s_waitcnt lgkmcnt(7)
	global_store_byte v[0:1], v11, off
	s_or_b64 exec, exec, s[0:1]
	s_and_saveexec_b64 s[0:1], s[38:39]
	s_cbranch_execz .LBB7_72
.LBB7_96:
	v_add_co_u32_e32 v0, vcc, 0x1000, v2
	s_nop 1
	v_addc_co_u32_e32 v1, vcc, 0, v3, vcc
	s_waitcnt lgkmcnt(6)
	global_store_byte v[0:1], v10, off offset:256
	s_or_b64 exec, exec, s[0:1]
	s_and_saveexec_b64 s[0:1], s[40:41]
	s_cbranch_execz .LBB7_73
.LBB7_97:
	v_add_co_u32_e32 v0, vcc, 0x1000, v2
	s_nop 1
	v_addc_co_u32_e32 v1, vcc, 0, v3, vcc
	s_waitcnt lgkmcnt(5)
	global_store_byte v[0:1], v9, off offset:512
	s_or_b64 exec, exec, s[0:1]
	s_and_saveexec_b64 s[0:1], s[42:43]
	s_cbranch_execz .LBB7_74
.LBB7_98:
	v_add_co_u32_e32 v0, vcc, 0x1000, v2
	s_nop 1
	v_addc_co_u32_e32 v1, vcc, 0, v3, vcc
	s_waitcnt lgkmcnt(4)
	global_store_byte v[0:1], v8, off offset:768
	s_or_b64 exec, exec, s[0:1]
	s_and_saveexec_b64 s[0:1], s[44:45]
	s_cbranch_execz .LBB7_75
.LBB7_99:
	v_add_co_u32_e32 v0, vcc, 0x1000, v2
	s_nop 1
	v_addc_co_u32_e32 v1, vcc, 0, v3, vcc
	s_waitcnt lgkmcnt(3)
	global_store_byte v[0:1], v7, off offset:1024
	s_or_b64 exec, exec, s[0:1]
	s_and_saveexec_b64 s[0:1], s[46:47]
	s_cbranch_execz .LBB7_76
.LBB7_100:
	v_add_co_u32_e32 v0, vcc, 0x1000, v2
	s_nop 1
	v_addc_co_u32_e32 v1, vcc, 0, v3, vcc
	s_waitcnt lgkmcnt(2)
	global_store_byte v[0:1], v6, off offset:1280
	s_or_b64 exec, exec, s[0:1]
	s_and_saveexec_b64 s[0:1], s[48:49]
	s_cbranch_execz .LBB7_77
.LBB7_101:
	v_add_co_u32_e32 v0, vcc, 0x1000, v2
	s_nop 1
	v_addc_co_u32_e32 v1, vcc, 0, v3, vcc
	s_waitcnt lgkmcnt(1)
	global_store_byte v[0:1], v5, off offset:1536
	s_or_b64 exec, exec, s[0:1]
	s_and_saveexec_b64 s[0:1], s[50:51]
	s_cbranch_execz .LBB7_78
.LBB7_102:
	v_add_co_u32_e32 v0, vcc, 0x1000, v2
	s_nop 1
	v_addc_co_u32_e32 v1, vcc, 0, v3, vcc
	s_waitcnt lgkmcnt(0)
	global_store_byte v[0:1], v4, off offset:1792
	s_endpgm
	.section	.rodata,"a",@progbits
	.p2align	6, 0x0
	.amdhsa_kernel _ZN7rocprim17ROCPRIM_304000_NS6detail18single_scan_kernelILb0ENS1_19wrapped_scan_configINS0_14default_configEhEEPKhPhSt4plusIhEhhEEvT1_mT4_T2_T3_
		.amdhsa_group_segment_fixed_size 6144
		.amdhsa_private_segment_fixed_size 0
		.amdhsa_kernarg_size 36
		.amdhsa_user_sgpr_count 2
		.amdhsa_user_sgpr_dispatch_ptr 0
		.amdhsa_user_sgpr_queue_ptr 0
		.amdhsa_user_sgpr_kernarg_segment_ptr 1
		.amdhsa_user_sgpr_dispatch_id 0
		.amdhsa_user_sgpr_kernarg_preload_length 0
		.amdhsa_user_sgpr_kernarg_preload_offset 0
		.amdhsa_user_sgpr_private_segment_size 0
		.amdhsa_uses_dynamic_stack 0
		.amdhsa_enable_private_segment 0
		.amdhsa_system_sgpr_workgroup_id_x 1
		.amdhsa_system_sgpr_workgroup_id_y 0
		.amdhsa_system_sgpr_workgroup_id_z 0
		.amdhsa_system_sgpr_workgroup_info 0
		.amdhsa_system_vgpr_workitem_id 0
		.amdhsa_next_free_vgpr 27
		.amdhsa_next_free_sgpr 54
		.amdhsa_accum_offset 28
		.amdhsa_reserve_vcc 1
		.amdhsa_float_round_mode_32 0
		.amdhsa_float_round_mode_16_64 0
		.amdhsa_float_denorm_mode_32 3
		.amdhsa_float_denorm_mode_16_64 3
		.amdhsa_dx10_clamp 1
		.amdhsa_ieee_mode 1
		.amdhsa_fp16_overflow 0
		.amdhsa_tg_split 0
		.amdhsa_exception_fp_ieee_invalid_op 0
		.amdhsa_exception_fp_denorm_src 0
		.amdhsa_exception_fp_ieee_div_zero 0
		.amdhsa_exception_fp_ieee_overflow 0
		.amdhsa_exception_fp_ieee_underflow 0
		.amdhsa_exception_fp_ieee_inexact 0
		.amdhsa_exception_int_div_zero 0
	.end_amdhsa_kernel
	.section	.text._ZN7rocprim17ROCPRIM_304000_NS6detail18single_scan_kernelILb0ENS1_19wrapped_scan_configINS0_14default_configEhEEPKhPhSt4plusIhEhhEEvT1_mT4_T2_T3_,"axG",@progbits,_ZN7rocprim17ROCPRIM_304000_NS6detail18single_scan_kernelILb0ENS1_19wrapped_scan_configINS0_14default_configEhEEPKhPhSt4plusIhEhhEEvT1_mT4_T2_T3_,comdat
.Lfunc_end7:
	.size	_ZN7rocprim17ROCPRIM_304000_NS6detail18single_scan_kernelILb0ENS1_19wrapped_scan_configINS0_14default_configEhEEPKhPhSt4plusIhEhhEEvT1_mT4_T2_T3_, .Lfunc_end7-_ZN7rocprim17ROCPRIM_304000_NS6detail18single_scan_kernelILb0ENS1_19wrapped_scan_configINS0_14default_configEhEEPKhPhSt4plusIhEhhEEvT1_mT4_T2_T3_
                                        ; -- End function
	.set _ZN7rocprim17ROCPRIM_304000_NS6detail18single_scan_kernelILb0ENS1_19wrapped_scan_configINS0_14default_configEhEEPKhPhSt4plusIhEhhEEvT1_mT4_T2_T3_.num_vgpr, 27
	.set _ZN7rocprim17ROCPRIM_304000_NS6detail18single_scan_kernelILb0ENS1_19wrapped_scan_configINS0_14default_configEhEEPKhPhSt4plusIhEhhEEvT1_mT4_T2_T3_.num_agpr, 0
	.set _ZN7rocprim17ROCPRIM_304000_NS6detail18single_scan_kernelILb0ENS1_19wrapped_scan_configINS0_14default_configEhEEPKhPhSt4plusIhEhhEEvT1_mT4_T2_T3_.numbered_sgpr, 54
	.set _ZN7rocprim17ROCPRIM_304000_NS6detail18single_scan_kernelILb0ENS1_19wrapped_scan_configINS0_14default_configEhEEPKhPhSt4plusIhEhhEEvT1_mT4_T2_T3_.num_named_barrier, 0
	.set _ZN7rocprim17ROCPRIM_304000_NS6detail18single_scan_kernelILb0ENS1_19wrapped_scan_configINS0_14default_configEhEEPKhPhSt4plusIhEhhEEvT1_mT4_T2_T3_.private_seg_size, 0
	.set _ZN7rocprim17ROCPRIM_304000_NS6detail18single_scan_kernelILb0ENS1_19wrapped_scan_configINS0_14default_configEhEEPKhPhSt4plusIhEhhEEvT1_mT4_T2_T3_.uses_vcc, 1
	.set _ZN7rocprim17ROCPRIM_304000_NS6detail18single_scan_kernelILb0ENS1_19wrapped_scan_configINS0_14default_configEhEEPKhPhSt4plusIhEhhEEvT1_mT4_T2_T3_.uses_flat_scratch, 0
	.set _ZN7rocprim17ROCPRIM_304000_NS6detail18single_scan_kernelILb0ENS1_19wrapped_scan_configINS0_14default_configEhEEPKhPhSt4plusIhEhhEEvT1_mT4_T2_T3_.has_dyn_sized_stack, 0
	.set _ZN7rocprim17ROCPRIM_304000_NS6detail18single_scan_kernelILb0ENS1_19wrapped_scan_configINS0_14default_configEhEEPKhPhSt4plusIhEhhEEvT1_mT4_T2_T3_.has_recursion, 0
	.set _ZN7rocprim17ROCPRIM_304000_NS6detail18single_scan_kernelILb0ENS1_19wrapped_scan_configINS0_14default_configEhEEPKhPhSt4plusIhEhhEEvT1_mT4_T2_T3_.has_indirect_call, 0
	.section	.AMDGPU.csdata,"",@progbits
; Kernel info:
; codeLenInByte = 4072
; TotalNumSgprs: 60
; NumVgprs: 27
; NumAgprs: 0
; TotalNumVgprs: 27
; ScratchSize: 0
; MemoryBound: 0
; FloatMode: 240
; IeeeMode: 1
; LDSByteSize: 6144 bytes/workgroup (compile time only)
; SGPRBlocks: 7
; VGPRBlocks: 3
; NumSGPRsForWavesPerEU: 60
; NumVGPRsForWavesPerEU: 27
; AccumOffset: 28
; Occupancy: 8
; WaveLimiterHint : 0
; COMPUTE_PGM_RSRC2:SCRATCH_EN: 0
; COMPUTE_PGM_RSRC2:USER_SGPR: 2
; COMPUTE_PGM_RSRC2:TRAP_HANDLER: 0
; COMPUTE_PGM_RSRC2:TGID_X_EN: 1
; COMPUTE_PGM_RSRC2:TGID_Y_EN: 0
; COMPUTE_PGM_RSRC2:TGID_Z_EN: 0
; COMPUTE_PGM_RSRC2:TIDIG_COMP_CNT: 0
; COMPUTE_PGM_RSRC3_GFX90A:ACCUM_OFFSET: 6
; COMPUTE_PGM_RSRC3_GFX90A:TG_SPLIT: 0
	.section	.text._ZN2at6native32tensor_kernel_scan_innermost_dimIhSt4plusIhEEEvPT_PKS4_jjjS4_T0_,"axG",@progbits,_ZN2at6native32tensor_kernel_scan_innermost_dimIhSt4plusIhEEEvPT_PKS4_jjjS4_T0_,comdat
	.protected	_ZN2at6native32tensor_kernel_scan_innermost_dimIhSt4plusIhEEEvPT_PKS4_jjjS4_T0_ ; -- Begin function _ZN2at6native32tensor_kernel_scan_innermost_dimIhSt4plusIhEEEvPT_PKS4_jjjS4_T0_
	.globl	_ZN2at6native32tensor_kernel_scan_innermost_dimIhSt4plusIhEEEvPT_PKS4_jjjS4_T0_
	.p2align	8
	.type	_ZN2at6native32tensor_kernel_scan_innermost_dimIhSt4plusIhEEEvPT_PKS4_jjjS4_T0_,@function
_ZN2at6native32tensor_kernel_scan_innermost_dimIhSt4plusIhEEEvPT_PKS4_jjjS4_T0_: ; @_ZN2at6native32tensor_kernel_scan_innermost_dimIhSt4plusIhEEEvPT_PKS4_jjjS4_T0_
; %bb.0:
	s_load_dwordx8 s[12:19], s[0:1], 0x0
	v_bfe_u32 v2, v0, 10, 10
	s_waitcnt lgkmcnt(0)
	s_lshl_b32 s3, 2, s18
	s_mul_hi_u32 s4, s16, s17
	v_mul_lo_u32 v1, s3, v2
	v_add_u32_e32 v18, 0, v1
	s_cmp_lg_u32 s4, 0
	s_mov_b64 s[4:5], -1
	s_cbranch_scc1 .LBB8_26
; %bb.1:
	s_load_dword s6, s[0:1], 0x2c
	s_add_u32 s4, s0, 32
	s_addc_u32 s5, s1, 0
	s_waitcnt lgkmcnt(0)
	s_lshr_b32 s6, s6, 16
	s_mul_i32 s24, s2, s6
	s_cmp_ge_u32 s24, s16
	s_cbranch_scc1 .LBB8_25
; %bb.2:
	s_load_dword s25, s[4:5], 0x0
	s_cmp_lg_u32 s17, 0
	s_cselect_b64 s[10:11], -1, 0
	v_and_b32_e32 v1, 0x3ff, v0
	v_lshl_add_u32 v3, 1, s18, v1
	v_cndmask_b32_e64 v4, 0, 1, s[10:11]
	v_cmp_eq_u32_e64 s[8:9], 0, v1
	v_add3_u32 v12, v18, s3, -1
	s_waitcnt lgkmcnt(0)
	s_mul_i32 s25, s25, s6
	s_add_i32 s26, s18, 1
	v_cmp_ne_u32_e64 s[4:5], 1, v4
	v_mov_b32_e32 v5, 0
	v_add_u32_e32 v13, v18, v1
	v_add_u32_e32 v14, v18, v3
	s_branch .LBB8_4
.LBB8_3:                                ;   in Loop: Header=BB8_4 Depth=1
	s_add_i32 s24, s24, s25
	s_cmp_ge_u32 s24, s16
	s_cbranch_scc1 .LBB8_25
.LBB8_4:                                ; =>This Loop Header: Depth=1
                                        ;     Child Loop BB8_7 Depth 2
                                        ;       Child Loop BB8_16 Depth 3
	s_and_b64 vcc, exec, s[4:5]
	s_cbranch_vccnz .LBB8_3
; %bb.5:                                ;   in Loop: Header=BB8_4 Depth=1
	v_add_u32_e32 v10, s24, v2
	v_mul_lo_u32 v4, v10, s17
	v_lshl_add_u64 v[6:7], s[14:15], 0, v[4:5]
	v_lshl_add_u64 v[8:9], s[12:13], 0, v[4:5]
	v_cmp_gt_u32_e32 vcc, s16, v10
	v_cmp_le_u32_e64 s[6:7], s16, v10
	s_mov_b32 s27, 0
	v_mov_b32_e32 v15, s19
	s_branch .LBB8_7
.LBB8_6:                                ;   in Loop: Header=BB8_7 Depth=2
	s_or_b64 exec, exec, s[20:21]
	ds_read_u8 v15, v12
	s_add_i32 s27, s27, s3
	s_cmp_ge_u32 s27, s17
	s_waitcnt lgkmcnt(0)
	s_barrier
	s_cbranch_scc1 .LBB8_3
.LBB8_7:                                ;   Parent Loop BB8_4 Depth=1
                                        ; =>  This Loop Header: Depth=2
                                        ;       Child Loop BB8_16 Depth 3
	v_add_u32_e32 v4, s27, v1
	v_add_u32_e32 v10, s27, v3
	s_and_saveexec_b64 s[20:21], vcc
	s_cbranch_execz .LBB8_14
; %bb.8:                                ;   in Loop: Header=BB8_7 Depth=2
	v_cmp_gt_u32_e64 s[10:11], s17, v4
	v_mov_b32_e32 v11, s19
	s_and_saveexec_b64 s[22:23], s[10:11]
	s_cbranch_execz .LBB8_10
; %bb.9:                                ;   in Loop: Header=BB8_7 Depth=2
	v_lshl_add_u64 v[16:17], v[6:7], 0, v[4:5]
	global_load_ubyte v11, v[16:17], off
.LBB8_10:                               ;   in Loop: Header=BB8_7 Depth=2
	s_or_b64 exec, exec, s[22:23]
	s_waitcnt vmcnt(0)
	ds_write_b8 v13, v11
	v_cmp_gt_u32_e64 s[10:11], s17, v10
	v_mov_b32_e32 v11, s19
	s_and_saveexec_b64 s[22:23], s[10:11]
	s_cbranch_execz .LBB8_12
; %bb.11:                               ;   in Loop: Header=BB8_7 Depth=2
	v_mov_b32_e32 v11, v5
	v_lshl_add_u64 v[16:17], v[6:7], 0, v[10:11]
	global_load_ubyte v11, v[16:17], off
.LBB8_12:                               ;   in Loop: Header=BB8_7 Depth=2
	s_or_b64 exec, exec, s[22:23]
	s_waitcnt vmcnt(0)
	ds_write_b8 v14, v11
	s_and_b64 exec, exec, s[8:9]
	s_cbranch_execz .LBB8_14
; %bb.13:                               ;   in Loop: Header=BB8_7 Depth=2
	ds_read_u8 v11, v18
	s_waitcnt lgkmcnt(0)
	v_add_u16_e32 v11, v11, v15
	ds_write_b8 v18, v11
.LBB8_14:                               ;   in Loop: Header=BB8_7 Depth=2
	s_or_b64 exec, exec, s[20:21]
	v_mov_b32_e32 v11, 0
	s_mov_b64 s[20:21], 0
	s_waitcnt lgkmcnt(0)
	s_barrier
	s_branch .LBB8_16
.LBB8_15:                               ;   in Loop: Header=BB8_16 Depth=3
	s_or_b64 exec, exec, s[10:11]
	v_cmp_eq_u32_e64 s[10:11], s26, v11
	s_or_b64 s[20:21], s[10:11], s[20:21]
	s_waitcnt lgkmcnt(0)
	s_barrier
	s_andn2_b64 exec, exec, s[20:21]
	s_cbranch_execz .LBB8_20
.LBB8_16:                               ;   Parent Loop BB8_4 Depth=1
                                        ;     Parent Loop BB8_7 Depth=2
                                        ; =>    This Inner Loop Header: Depth=3
	v_add_u32_e32 v15, 1, v11
	s_and_saveexec_b64 s[10:11], s[6:7]
	s_xor_b64 s[10:11], exec, s[10:11]
; %bb.17:                               ;   in Loop: Header=BB8_16 Depth=3
	v_add_u32_e32 v11, 1, v11
                                        ; implicit-def: $vgpr15
; %bb.18:                               ;   in Loop: Header=BB8_16 Depth=3
	s_andn2_saveexec_b64 s[10:11], s[10:11]
	s_cbranch_execz .LBB8_15
; %bb.19:                               ;   in Loop: Header=BB8_16 Depth=3
	v_lshlrev_b32_e64 v16, v11, 1
	v_lshrrev_b32_e32 v17, v11, v1
	v_lshl_or_b32 v16, v17, v15, v16
	v_bfm_b32 v11, v11, 0
	v_and_b32_e32 v11, v11, v1
	v_add_u32_e32 v16, v18, v16
	v_add_u32_e32 v11, v16, v11
	v_add_u32_e32 v16, -1, v16
	ds_read_u8 v17, v11
	ds_read_u8 v16, v16
	s_waitcnt lgkmcnt(0)
	v_add_u16_e32 v16, v16, v17
	ds_write_b8 v11, v16
	v_mov_b32_e32 v11, v15
	s_branch .LBB8_15
.LBB8_20:                               ;   in Loop: Header=BB8_7 Depth=2
	s_or_b64 exec, exec, s[20:21]
	s_and_saveexec_b64 s[20:21], vcc
	s_cbranch_execz .LBB8_6
; %bb.21:                               ;   in Loop: Header=BB8_7 Depth=2
	v_cmp_gt_u32_e64 s[10:11], s17, v4
	s_and_saveexec_b64 s[22:23], s[10:11]
	s_cbranch_execz .LBB8_23
; %bb.22:                               ;   in Loop: Header=BB8_7 Depth=2
	ds_read_u8 v11, v13
	v_lshl_add_u64 v[16:17], v[8:9], 0, v[4:5]
	s_waitcnt lgkmcnt(0)
	global_store_byte v[16:17], v11, off
.LBB8_23:                               ;   in Loop: Header=BB8_7 Depth=2
	s_or_b64 exec, exec, s[22:23]
	v_cmp_gt_u32_e64 s[10:11], s17, v10
	s_and_b64 exec, exec, s[10:11]
	s_cbranch_execz .LBB8_6
; %bb.24:                               ;   in Loop: Header=BB8_7 Depth=2
	ds_read_u8 v4, v14
	v_mov_b32_e32 v11, v5
	v_lshl_add_u64 v[10:11], v[8:9], 0, v[10:11]
	s_waitcnt lgkmcnt(0)
	global_store_byte v[10:11], v4, off
	s_branch .LBB8_6
.LBB8_25:
	s_mov_b64 s[4:5], 0
.LBB8_26:
	s_andn2_b64 vcc, exec, s[4:5]
	s_cbranch_vccnz .LBB8_53
; %bb.27:
	s_load_dword s3, s[0:1], 0x2c
	s_add_u32 s0, s0, 32
	s_mov_b32 s9, 0
	s_addc_u32 s1, s1, 0
	s_mov_b32 s8, s16
	s_waitcnt lgkmcnt(0)
	s_lshr_b32 s3, s3, 16
	s_mul_hi_u32 s11, s3, s2
	s_mul_i32 s10, s3, s2
	v_mov_b64_e32 v[4:5], s[8:9]
	v_cmp_ge_u64_e32 vcc, s[10:11], v[4:5]
	s_cbranch_vccnz .LBB8_53
; %bb.28:
	s_lshl_b32 s20, 1, s18
	s_load_dword s5, s[0:1], 0x0
	s_and_b32 s4, 0xffff, s3
	s_ashr_i32 s21, s20, 31
	s_cmp_lg_u32 s17, 0
	s_cselect_b64 s[2:3], -1, 0
	v_mov_b32_e32 v3, 0
	s_mov_b32 s22, s17
	v_and_b32_e32 v0, 0x3ff, v0
	v_add_u32_e32 v6, s20, v18
	s_lshl_b64 s[16:17], s[20:21], 1
	v_cndmask_b32_e64 v4, 0, 1, s[2:3]
	s_mov_b32 s23, s9
	v_mov_b32_e32 v1, v3
	v_cmp_eq_u32_e64 s[0:1], 0, v0
	v_add3_u32 v19, v18, s16, -1
	s_waitcnt lgkmcnt(0)
	s_mul_i32 s33, s5, s4
	s_add_i32 s18, s18, 1
	v_cmp_ne_u32_e64 s[2:3], 1, v4
	v_mov_b64_e32 v[4:5], s[8:9]
	v_add_u32_e32 v20, v18, v0
	v_add_u32_e32 v21, v6, v0
	s_branch .LBB8_30
.LBB8_29:                               ;   in Loop: Header=BB8_30 Depth=1
	s_add_u32 s10, s10, s33
	s_addc_u32 s11, s11, 0
	v_cmp_ge_u64_e32 vcc, s[10:11], v[4:5]
	s_cbranch_vccnz .LBB8_53
.LBB8_30:                               ; =>This Loop Header: Depth=1
                                        ;     Child Loop BB8_33 Depth 2
                                        ;       Child Loop BB8_43 Depth 3
	s_and_b64 vcc, exec, s[2:3]
	s_cbranch_vccnz .LBB8_29
; %bb.31:                               ;   in Loop: Header=BB8_30 Depth=1
	v_lshl_add_u64 v[10:11], s[10:11], 0, v[2:3]
	v_mov_b64_e32 v[6:7], s[14:15]
	v_mov_b64_e32 v[8:9], s[12:13]
	v_mad_u64_u32 v[6:7], s[4:5], v10, s22, v[6:7]
	v_mul_lo_u32 v12, v11, s22
	v_mad_u64_u32 v[8:9], s[4:5], v10, s22, v[8:9]
	v_add_u32_e32 v7, v12, v7
	v_add_u32_e32 v9, v12, v9
	v_cmp_gt_u64_e64 s[4:5], s[8:9], v[10:11]
	v_cmp_le_u64_e64 s[6:7], s[8:9], v[10:11]
	s_mov_b64 s[24:25], 0
	v_mov_b32_e32 v14, s19
	s_branch .LBB8_33
.LBB8_32:                               ;   in Loop: Header=BB8_33 Depth=2
	s_or_b64 exec, exec, s[26:27]
	ds_read_u8 v14, v19
	s_add_u32 s24, s24, s16
	s_addc_u32 s25, s25, s17
	v_mov_b64_e32 v[10:11], s[22:23]
	v_cmp_ge_u64_e32 vcc, s[24:25], v[10:11]
	s_waitcnt lgkmcnt(0)
	s_barrier
	s_cbranch_vccnz .LBB8_29
.LBB8_33:                               ;   Parent Loop BB8_30 Depth=1
                                        ; =>  This Loop Header: Depth=2
                                        ;       Child Loop BB8_43 Depth 3
	v_lshl_add_u64 v[12:13], s[24:25], 0, v[0:1]
	v_lshl_add_u64 v[10:11], v[12:13], 0, s[20:21]
	s_and_saveexec_b64 s[26:27], s[4:5]
	s_cbranch_execz .LBB8_40
; %bb.34:                               ;   in Loop: Header=BB8_33 Depth=2
	v_cmp_gt_u64_e32 vcc, s[22:23], v[12:13]
	v_mov_b32_e32 v15, s19
	s_and_saveexec_b64 s[28:29], vcc
	s_cbranch_execz .LBB8_36
; %bb.35:                               ;   in Loop: Header=BB8_33 Depth=2
	v_lshl_add_u64 v[16:17], v[6:7], 0, v[12:13]
	global_load_ubyte v15, v[16:17], off
.LBB8_36:                               ;   in Loop: Header=BB8_33 Depth=2
	s_or_b64 exec, exec, s[28:29]
	s_waitcnt vmcnt(0)
	ds_write_b8 v20, v15
	v_cmp_gt_u64_e32 vcc, s[22:23], v[10:11]
	v_mov_b32_e32 v15, s19
	s_and_saveexec_b64 s[28:29], vcc
	s_cbranch_execz .LBB8_38
; %bb.37:                               ;   in Loop: Header=BB8_33 Depth=2
	v_lshl_add_u64 v[16:17], v[6:7], 0, v[10:11]
	global_load_ubyte v15, v[16:17], off
.LBB8_38:                               ;   in Loop: Header=BB8_33 Depth=2
	s_or_b64 exec, exec, s[28:29]
	s_waitcnt vmcnt(0)
	ds_write_b8 v21, v15
	s_and_b64 exec, exec, s[0:1]
	s_cbranch_execz .LBB8_40
; %bb.39:                               ;   in Loop: Header=BB8_33 Depth=2
	ds_read_u8 v15, v18
	s_waitcnt lgkmcnt(0)
	v_add_u16_e32 v14, v15, v14
	ds_write_b8 v18, v14
.LBB8_40:                               ;   in Loop: Header=BB8_33 Depth=2
	s_or_b64 exec, exec, s[26:27]
	v_mov_b32_e32 v23, 0
	s_mov_b64 s[26:27], 0
	s_waitcnt lgkmcnt(0)
	s_barrier
	s_branch .LBB8_43
.LBB8_41:                               ;   in Loop: Header=BB8_43 Depth=3
	s_or_b64 exec, exec, s[30:31]
	v_lshrrev_b32_e32 v15, v23, v0
	v_lshl_or_b32 v14, v15, v22, v14
	v_add_u32_e32 v14, v18, v14
	v_add_u32_e32 v15, v14, v16
	v_add_u32_e32 v14, -1, v14
	ds_read_u8 v16, v15
	ds_read_u8 v14, v14
	s_waitcnt lgkmcnt(0)
	v_add_u16_e32 v14, v14, v16
	ds_write_b8 v15, v14
.LBB8_42:                               ;   in Loop: Header=BB8_43 Depth=3
	s_or_b64 exec, exec, s[28:29]
	v_cmp_eq_u32_e32 vcc, s18, v22
	s_or_b64 s[26:27], vcc, s[26:27]
	v_mov_b32_e32 v23, v22
	s_waitcnt lgkmcnt(0)
	s_barrier
	s_andn2_b64 exec, exec, s[26:27]
	s_cbranch_execz .LBB8_48
.LBB8_43:                               ;   Parent Loop BB8_30 Depth=1
                                        ;     Parent Loop BB8_33 Depth=2
                                        ; =>    This Inner Loop Header: Depth=3
	v_add_u32_e32 v22, 1, v23
	s_and_saveexec_b64 s[28:29], s[6:7]
	s_xor_b64 s[28:29], exec, s[28:29]
; %bb.44:                               ;   in Loop: Header=BB8_43 Depth=3
	v_add_u32_e32 v22, 1, v23
                                        ; implicit-def: $vgpr23
; %bb.45:                               ;   in Loop: Header=BB8_43 Depth=3
	s_andn2_saveexec_b64 s[28:29], s[28:29]
	s_cbranch_execz .LBB8_42
; %bb.46:                               ;   in Loop: Header=BB8_43 Depth=3
	v_lshlrev_b32_e64 v14, v23, 1
	v_ashrrev_i32_e32 v15, 31, v14
	v_cmp_ge_u64_e32 vcc, v[0:1], v[14:15]
	v_mov_b64_e32 v[16:17], v[0:1]
	s_and_saveexec_b64 s[30:31], vcc
	s_cbranch_execz .LBB8_41
; %bb.47:                               ;   in Loop: Header=BB8_43 Depth=3
	v_cvt_f32_u32_e32 v15, v14
	v_sub_u32_e32 v16, 0, v14
	v_rcp_iflag_f32_e32 v15, v15
	s_nop 0
	v_mul_f32_e32 v15, 0x4f7ffffe, v15
	v_cvt_u32_f32_e32 v15, v15
	v_mul_lo_u32 v16, v16, v15
	v_mul_hi_u32 v16, v15, v16
	v_add_u32_e32 v15, v15, v16
	v_mul_hi_u32 v15, v0, v15
	v_mul_lo_u32 v15, v15, v14
	v_sub_u32_e32 v15, v0, v15
	v_sub_u32_e32 v16, v15, v14
	v_cmp_ge_u32_e32 vcc, v15, v14
	s_nop 1
	v_cndmask_b32_e32 v15, v15, v16, vcc
	v_sub_u32_e32 v16, v15, v14
	v_cmp_ge_u32_e32 vcc, v15, v14
	s_nop 1
	v_cndmask_b32_e32 v16, v15, v16, vcc
	s_branch .LBB8_41
.LBB8_48:                               ;   in Loop: Header=BB8_33 Depth=2
	s_or_b64 exec, exec, s[26:27]
	s_and_saveexec_b64 s[26:27], s[4:5]
	s_cbranch_execz .LBB8_32
; %bb.49:                               ;   in Loop: Header=BB8_33 Depth=2
	v_cmp_gt_u64_e32 vcc, s[22:23], v[12:13]
	s_and_saveexec_b64 s[28:29], vcc
	s_cbranch_execz .LBB8_51
; %bb.50:                               ;   in Loop: Header=BB8_33 Depth=2
	ds_read_u8 v14, v20
	v_lshl_add_u64 v[12:13], v[8:9], 0, v[12:13]
	s_waitcnt lgkmcnt(0)
	global_store_byte v[12:13], v14, off
.LBB8_51:                               ;   in Loop: Header=BB8_33 Depth=2
	s_or_b64 exec, exec, s[28:29]
	v_cmp_gt_u64_e32 vcc, s[22:23], v[10:11]
	s_and_b64 exec, exec, vcc
	s_cbranch_execz .LBB8_32
; %bb.52:                               ;   in Loop: Header=BB8_33 Depth=2
	ds_read_u8 v12, v21
	v_lshl_add_u64 v[10:11], v[8:9], 0, v[10:11]
	s_waitcnt lgkmcnt(0)
	global_store_byte v[10:11], v12, off
	s_branch .LBB8_32
.LBB8_53:
	s_endpgm
	.section	.rodata,"a",@progbits
	.p2align	6, 0x0
	.amdhsa_kernel _ZN2at6native32tensor_kernel_scan_innermost_dimIhSt4plusIhEEEvPT_PKS4_jjjS4_T0_
		.amdhsa_group_segment_fixed_size 0
		.amdhsa_private_segment_fixed_size 0
		.amdhsa_kernarg_size 288
		.amdhsa_user_sgpr_count 2
		.amdhsa_user_sgpr_dispatch_ptr 0
		.amdhsa_user_sgpr_queue_ptr 0
		.amdhsa_user_sgpr_kernarg_segment_ptr 1
		.amdhsa_user_sgpr_dispatch_id 0
		.amdhsa_user_sgpr_kernarg_preload_length 0
		.amdhsa_user_sgpr_kernarg_preload_offset 0
		.amdhsa_user_sgpr_private_segment_size 0
		.amdhsa_uses_dynamic_stack 0
		.amdhsa_enable_private_segment 0
		.amdhsa_system_sgpr_workgroup_id_x 1
		.amdhsa_system_sgpr_workgroup_id_y 0
		.amdhsa_system_sgpr_workgroup_id_z 0
		.amdhsa_system_sgpr_workgroup_info 0
		.amdhsa_system_vgpr_workitem_id 1
		.amdhsa_next_free_vgpr 24
		.amdhsa_next_free_sgpr 34
		.amdhsa_accum_offset 24
		.amdhsa_reserve_vcc 1
		.amdhsa_float_round_mode_32 0
		.amdhsa_float_round_mode_16_64 0
		.amdhsa_float_denorm_mode_32 3
		.amdhsa_float_denorm_mode_16_64 3
		.amdhsa_dx10_clamp 1
		.amdhsa_ieee_mode 1
		.amdhsa_fp16_overflow 0
		.amdhsa_tg_split 0
		.amdhsa_exception_fp_ieee_invalid_op 0
		.amdhsa_exception_fp_denorm_src 0
		.amdhsa_exception_fp_ieee_div_zero 0
		.amdhsa_exception_fp_ieee_overflow 0
		.amdhsa_exception_fp_ieee_underflow 0
		.amdhsa_exception_fp_ieee_inexact 0
		.amdhsa_exception_int_div_zero 0
	.end_amdhsa_kernel
	.section	.text._ZN2at6native32tensor_kernel_scan_innermost_dimIhSt4plusIhEEEvPT_PKS4_jjjS4_T0_,"axG",@progbits,_ZN2at6native32tensor_kernel_scan_innermost_dimIhSt4plusIhEEEvPT_PKS4_jjjS4_T0_,comdat
.Lfunc_end8:
	.size	_ZN2at6native32tensor_kernel_scan_innermost_dimIhSt4plusIhEEEvPT_PKS4_jjjS4_T0_, .Lfunc_end8-_ZN2at6native32tensor_kernel_scan_innermost_dimIhSt4plusIhEEEvPT_PKS4_jjjS4_T0_
                                        ; -- End function
	.set _ZN2at6native32tensor_kernel_scan_innermost_dimIhSt4plusIhEEEvPT_PKS4_jjjS4_T0_.num_vgpr, 24
	.set _ZN2at6native32tensor_kernel_scan_innermost_dimIhSt4plusIhEEEvPT_PKS4_jjjS4_T0_.num_agpr, 0
	.set _ZN2at6native32tensor_kernel_scan_innermost_dimIhSt4plusIhEEEvPT_PKS4_jjjS4_T0_.numbered_sgpr, 34
	.set _ZN2at6native32tensor_kernel_scan_innermost_dimIhSt4plusIhEEEvPT_PKS4_jjjS4_T0_.num_named_barrier, 0
	.set _ZN2at6native32tensor_kernel_scan_innermost_dimIhSt4plusIhEEEvPT_PKS4_jjjS4_T0_.private_seg_size, 0
	.set _ZN2at6native32tensor_kernel_scan_innermost_dimIhSt4plusIhEEEvPT_PKS4_jjjS4_T0_.uses_vcc, 1
	.set _ZN2at6native32tensor_kernel_scan_innermost_dimIhSt4plusIhEEEvPT_PKS4_jjjS4_T0_.uses_flat_scratch, 0
	.set _ZN2at6native32tensor_kernel_scan_innermost_dimIhSt4plusIhEEEvPT_PKS4_jjjS4_T0_.has_dyn_sized_stack, 0
	.set _ZN2at6native32tensor_kernel_scan_innermost_dimIhSt4plusIhEEEvPT_PKS4_jjjS4_T0_.has_recursion, 0
	.set _ZN2at6native32tensor_kernel_scan_innermost_dimIhSt4plusIhEEEvPT_PKS4_jjjS4_T0_.has_indirect_call, 0
	.section	.AMDGPU.csdata,"",@progbits
; Kernel info:
; codeLenInByte = 1572
; TotalNumSgprs: 40
; NumVgprs: 24
; NumAgprs: 0
; TotalNumVgprs: 24
; ScratchSize: 0
; MemoryBound: 0
; FloatMode: 240
; IeeeMode: 1
; LDSByteSize: 0 bytes/workgroup (compile time only)
; SGPRBlocks: 4
; VGPRBlocks: 2
; NumSGPRsForWavesPerEU: 40
; NumVGPRsForWavesPerEU: 24
; AccumOffset: 24
; Occupancy: 8
; WaveLimiterHint : 0
; COMPUTE_PGM_RSRC2:SCRATCH_EN: 0
; COMPUTE_PGM_RSRC2:USER_SGPR: 2
; COMPUTE_PGM_RSRC2:TRAP_HANDLER: 0
; COMPUTE_PGM_RSRC2:TGID_X_EN: 1
; COMPUTE_PGM_RSRC2:TGID_Y_EN: 0
; COMPUTE_PGM_RSRC2:TGID_Z_EN: 0
; COMPUTE_PGM_RSRC2:TIDIG_COMP_CNT: 1
; COMPUTE_PGM_RSRC3_GFX90A:ACCUM_OFFSET: 5
; COMPUTE_PGM_RSRC3_GFX90A:TG_SPLIT: 0
	.section	.text._ZN2at6native28tensor_kernel_scan_outer_dimIhjSt4plusIhEEEvPT_PKS4_jjjS4_T1_,"axG",@progbits,_ZN2at6native28tensor_kernel_scan_outer_dimIhjSt4plusIhEEEvPT_PKS4_jjjS4_T1_,comdat
	.protected	_ZN2at6native28tensor_kernel_scan_outer_dimIhjSt4plusIhEEEvPT_PKS4_jjjS4_T1_ ; -- Begin function _ZN2at6native28tensor_kernel_scan_outer_dimIhjSt4plusIhEEEvPT_PKS4_jjjS4_T1_
	.globl	_ZN2at6native28tensor_kernel_scan_outer_dimIhjSt4plusIhEEEvPT_PKS4_jjjS4_T1_
	.p2align	8
	.type	_ZN2at6native28tensor_kernel_scan_outer_dimIhjSt4plusIhEEEvPT_PKS4_jjjS4_T1_,@function
_ZN2at6native28tensor_kernel_scan_outer_dimIhjSt4plusIhEEEvPT_PKS4_jjjS4_T1_: ; @_ZN2at6native28tensor_kernel_scan_outer_dimIhjSt4plusIhEEEvPT_PKS4_jjjS4_T1_
; %bb.0:
	s_load_dwordx4 s[8:11], s[0:1], 0x10
	s_waitcnt lgkmcnt(0)
	s_cmp_ge_u32 s2, s8
	s_cbranch_scc1 .LBB9_9
; %bb.1:
	s_load_dword s4, s[0:1], 0x2c
	s_load_dwordx4 s[12:15], s[0:1], 0x0
	s_load_dword s24, s[0:1], 0x20
	s_add_u32 s6, s0, 32
	s_addc_u32 s7, s1, 0
	s_waitcnt lgkmcnt(0)
	s_and_b32 s25, s4, 0xffff
	s_mul_i32 s3, s3, s25
	s_cmp_lg_u32 s10, 0
	v_add_u32_e32 v4, s3, v0
	s_mul_i32 s3, s2, s10
	s_cselect_b64 s[4:5], -1, 0
	s_mov_b32 s17, 0
	s_mul_i32 s16, s3, s9
	s_mul_i32 s3, s24, s10
	v_cndmask_b32_e64 v0, 0, 1, s[4:5]
	v_cmp_gt_u32_e64 s[0:1], s9, v4
	s_mov_b32 s18, s9
	s_mov_b32 s19, s17
	s_mul_i32 s3, s3, s9
	v_cmp_ne_u32_e64 s[4:5], 1, v0
	v_mov_b32_e32 v1, 0
	s_branch .LBB9_3
.LBB9_2:                                ;   in Loop: Header=BB9_3 Depth=1
	s_or_b64 exec, exec, s[20:21]
	s_add_i32 s2, s24, s2
	s_add_i32 s16, s16, s3
	s_cmp_ge_u32 s2, s8
	s_cbranch_scc1 .LBB9_9
.LBB9_3:                                ; =>This Loop Header: Depth=1
                                        ;     Child Loop BB9_6 Depth 2
                                        ;       Child Loop BB9_8 Depth 3
	s_and_saveexec_b64 s[20:21], s[0:1]
	s_cbranch_execz .LBB9_2
; %bb.4:                                ;   in Loop: Header=BB9_3 Depth=1
	s_load_dword s26, s[6:7], 0x4
	s_mov_b64 s[22:23], 0
	v_mov_b32_e32 v0, v4
	s_waitcnt lgkmcnt(0)
	s_mul_i32 s26, s26, s25
	s_branch .LBB9_6
.LBB9_5:                                ;   in Loop: Header=BB9_6 Depth=2
	v_add_u32_e32 v0, s26, v0
	v_cmp_le_u32_e32 vcc, s9, v0
	s_or_b64 s[22:23], vcc, s[22:23]
	s_andn2_b64 exec, exec, s[22:23]
	s_cbranch_execz .LBB9_2
.LBB9_6:                                ;   Parent Loop BB9_3 Depth=1
                                        ; =>  This Loop Header: Depth=2
                                        ;       Child Loop BB9_8 Depth 3
	s_and_b64 vcc, exec, s[4:5]
	s_cbranch_vccnz .LBB9_5
; %bb.7:                                ;   in Loop: Header=BB9_6 Depth=2
	v_lshl_add_u64 v[2:3], s[16:17], 0, v[0:1]
	v_mov_b32_e32 v5, s11
	s_mov_b32 s27, s10
.LBB9_8:                                ;   Parent Loop BB9_3 Depth=1
                                        ;     Parent Loop BB9_6 Depth=2
                                        ; =>    This Inner Loop Header: Depth=3
	v_lshl_add_u64 v[6:7], s[14:15], 0, v[2:3]
	global_load_ubyte v8, v[6:7], off
	s_add_i32 s27, s27, -1
	v_lshl_add_u64 v[6:7], s[12:13], 0, v[2:3]
	v_lshl_add_u64 v[2:3], v[2:3], 0, s[18:19]
	s_cmp_eq_u32 s27, 0
	s_waitcnt vmcnt(0)
	v_add_u16_e32 v5, v8, v5
	global_store_byte v[6:7], v5, off
	s_cbranch_scc0 .LBB9_8
	s_branch .LBB9_5
.LBB9_9:
	s_endpgm
	.section	.rodata,"a",@progbits
	.p2align	6, 0x0
	.amdhsa_kernel _ZN2at6native28tensor_kernel_scan_outer_dimIhjSt4plusIhEEEvPT_PKS4_jjjS4_T1_
		.amdhsa_group_segment_fixed_size 0
		.amdhsa_private_segment_fixed_size 0
		.amdhsa_kernarg_size 288
		.amdhsa_user_sgpr_count 2
		.amdhsa_user_sgpr_dispatch_ptr 0
		.amdhsa_user_sgpr_queue_ptr 0
		.amdhsa_user_sgpr_kernarg_segment_ptr 1
		.amdhsa_user_sgpr_dispatch_id 0
		.amdhsa_user_sgpr_kernarg_preload_length 0
		.amdhsa_user_sgpr_kernarg_preload_offset 0
		.amdhsa_user_sgpr_private_segment_size 0
		.amdhsa_uses_dynamic_stack 0
		.amdhsa_enable_private_segment 0
		.amdhsa_system_sgpr_workgroup_id_x 1
		.amdhsa_system_sgpr_workgroup_id_y 1
		.amdhsa_system_sgpr_workgroup_id_z 0
		.amdhsa_system_sgpr_workgroup_info 0
		.amdhsa_system_vgpr_workitem_id 0
		.amdhsa_next_free_vgpr 9
		.amdhsa_next_free_sgpr 28
		.amdhsa_accum_offset 12
		.amdhsa_reserve_vcc 1
		.amdhsa_float_round_mode_32 0
		.amdhsa_float_round_mode_16_64 0
		.amdhsa_float_denorm_mode_32 3
		.amdhsa_float_denorm_mode_16_64 3
		.amdhsa_dx10_clamp 1
		.amdhsa_ieee_mode 1
		.amdhsa_fp16_overflow 0
		.amdhsa_tg_split 0
		.amdhsa_exception_fp_ieee_invalid_op 0
		.amdhsa_exception_fp_denorm_src 0
		.amdhsa_exception_fp_ieee_div_zero 0
		.amdhsa_exception_fp_ieee_overflow 0
		.amdhsa_exception_fp_ieee_underflow 0
		.amdhsa_exception_fp_ieee_inexact 0
		.amdhsa_exception_int_div_zero 0
	.end_amdhsa_kernel
	.section	.text._ZN2at6native28tensor_kernel_scan_outer_dimIhjSt4plusIhEEEvPT_PKS4_jjjS4_T1_,"axG",@progbits,_ZN2at6native28tensor_kernel_scan_outer_dimIhjSt4plusIhEEEvPT_PKS4_jjjS4_T1_,comdat
.Lfunc_end9:
	.size	_ZN2at6native28tensor_kernel_scan_outer_dimIhjSt4plusIhEEEvPT_PKS4_jjjS4_T1_, .Lfunc_end9-_ZN2at6native28tensor_kernel_scan_outer_dimIhjSt4plusIhEEEvPT_PKS4_jjjS4_T1_
                                        ; -- End function
	.set _ZN2at6native28tensor_kernel_scan_outer_dimIhjSt4plusIhEEEvPT_PKS4_jjjS4_T1_.num_vgpr, 9
	.set _ZN2at6native28tensor_kernel_scan_outer_dimIhjSt4plusIhEEEvPT_PKS4_jjjS4_T1_.num_agpr, 0
	.set _ZN2at6native28tensor_kernel_scan_outer_dimIhjSt4plusIhEEEvPT_PKS4_jjjS4_T1_.numbered_sgpr, 28
	.set _ZN2at6native28tensor_kernel_scan_outer_dimIhjSt4plusIhEEEvPT_PKS4_jjjS4_T1_.num_named_barrier, 0
	.set _ZN2at6native28tensor_kernel_scan_outer_dimIhjSt4plusIhEEEvPT_PKS4_jjjS4_T1_.private_seg_size, 0
	.set _ZN2at6native28tensor_kernel_scan_outer_dimIhjSt4plusIhEEEvPT_PKS4_jjjS4_T1_.uses_vcc, 1
	.set _ZN2at6native28tensor_kernel_scan_outer_dimIhjSt4plusIhEEEvPT_PKS4_jjjS4_T1_.uses_flat_scratch, 0
	.set _ZN2at6native28tensor_kernel_scan_outer_dimIhjSt4plusIhEEEvPT_PKS4_jjjS4_T1_.has_dyn_sized_stack, 0
	.set _ZN2at6native28tensor_kernel_scan_outer_dimIhjSt4plusIhEEEvPT_PKS4_jjjS4_T1_.has_recursion, 0
	.set _ZN2at6native28tensor_kernel_scan_outer_dimIhjSt4plusIhEEEvPT_PKS4_jjjS4_T1_.has_indirect_call, 0
	.section	.AMDGPU.csdata,"",@progbits
; Kernel info:
; codeLenInByte = 308
; TotalNumSgprs: 34
; NumVgprs: 9
; NumAgprs: 0
; TotalNumVgprs: 9
; ScratchSize: 0
; MemoryBound: 0
; FloatMode: 240
; IeeeMode: 1
; LDSByteSize: 0 bytes/workgroup (compile time only)
; SGPRBlocks: 4
; VGPRBlocks: 1
; NumSGPRsForWavesPerEU: 34
; NumVGPRsForWavesPerEU: 9
; AccumOffset: 12
; Occupancy: 8
; WaveLimiterHint : 0
; COMPUTE_PGM_RSRC2:SCRATCH_EN: 0
; COMPUTE_PGM_RSRC2:USER_SGPR: 2
; COMPUTE_PGM_RSRC2:TRAP_HANDLER: 0
; COMPUTE_PGM_RSRC2:TGID_X_EN: 1
; COMPUTE_PGM_RSRC2:TGID_Y_EN: 1
; COMPUTE_PGM_RSRC2:TGID_Z_EN: 0
; COMPUTE_PGM_RSRC2:TIDIG_COMP_CNT: 0
; COMPUTE_PGM_RSRC3_GFX90A:ACCUM_OFFSET: 2
; COMPUTE_PGM_RSRC3_GFX90A:TG_SPLIT: 0
	.section	.text._ZN2at6native28tensor_kernel_scan_outer_dimIhmSt4plusIhEEEvPT_PKS4_jjjS4_T1_,"axG",@progbits,_ZN2at6native28tensor_kernel_scan_outer_dimIhmSt4plusIhEEEvPT_PKS4_jjjS4_T1_,comdat
	.protected	_ZN2at6native28tensor_kernel_scan_outer_dimIhmSt4plusIhEEEvPT_PKS4_jjjS4_T1_ ; -- Begin function _ZN2at6native28tensor_kernel_scan_outer_dimIhmSt4plusIhEEEvPT_PKS4_jjjS4_T1_
	.globl	_ZN2at6native28tensor_kernel_scan_outer_dimIhmSt4plusIhEEEvPT_PKS4_jjjS4_T1_
	.p2align	8
	.type	_ZN2at6native28tensor_kernel_scan_outer_dimIhmSt4plusIhEEEvPT_PKS4_jjjS4_T1_,@function
_ZN2at6native28tensor_kernel_scan_outer_dimIhmSt4plusIhEEEvPT_PKS4_jjjS4_T1_: ; @_ZN2at6native28tensor_kernel_scan_outer_dimIhmSt4plusIhEEEvPT_PKS4_jjjS4_T1_
; %bb.0:
	s_load_dwordx4 s[8:11], s[0:1], 0x10
	s_waitcnt lgkmcnt(0)
	s_cmp_ge_u32 s2, s8
	s_cbranch_scc1 .LBB10_9
; %bb.1:
	s_load_dword s4, s[0:1], 0x2c
	s_load_dwordx4 s[12:15], s[0:1], 0x0
	s_load_dword s24, s[0:1], 0x20
	s_add_u32 s6, s0, 32
	s_addc_u32 s7, s1, 0
	s_waitcnt lgkmcnt(0)
	s_and_b32 s25, s4, 0xffff
	s_cmp_lg_u32 s10, 0
	s_mul_i32 s3, s3, s25
	s_cselect_b64 s[4:5], -1, 0
	v_add_u32_e32 v4, s3, v0
	v_cndmask_b32_e64 v0, 0, 1, s[4:5]
	v_cmp_gt_u32_e64 s[0:1], s9, v4
	s_mov_b32 s17, 0
	s_mov_b32 s16, s9
	s_mul_hi_u32 s3, s10, s9
	s_mul_i32 s26, s10, s9
	v_cmp_ne_u32_e64 s[4:5], 1, v0
	v_mov_b32_e32 v1, 0
	s_branch .LBB10_3
.LBB10_2:                               ;   in Loop: Header=BB10_3 Depth=1
	s_or_b64 exec, exec, s[18:19]
	s_add_i32 s2, s2, s24
	s_cmp_ge_u32 s2, s8
	s_cbranch_scc1 .LBB10_9
.LBB10_3:                               ; =>This Loop Header: Depth=1
                                        ;     Child Loop BB10_6 Depth 2
                                        ;       Child Loop BB10_8 Depth 3
	s_and_saveexec_b64 s[18:19], s[0:1]
	s_cbranch_execz .LBB10_2
; %bb.4:                                ;   in Loop: Header=BB10_3 Depth=1
	s_load_dword s27, s[6:7], 0x4
	s_mul_i32 s21, s3, s2
	s_mul_hi_u32 s22, s26, s2
	s_mul_i32 s20, s26, s2
	s_add_i32 s21, s22, s21
	s_waitcnt lgkmcnt(0)
	s_mul_i32 s27, s27, s25
	s_mov_b64 s[22:23], 0
	v_mov_b32_e32 v0, v4
	s_branch .LBB10_6
.LBB10_5:                               ;   in Loop: Header=BB10_6 Depth=2
	v_add_u32_e32 v0, s27, v0
	v_cmp_le_u32_e32 vcc, s9, v0
	s_or_b64 s[22:23], vcc, s[22:23]
	s_andn2_b64 exec, exec, s[22:23]
	s_cbranch_execz .LBB10_2
.LBB10_6:                               ;   Parent Loop BB10_3 Depth=1
                                        ; =>  This Loop Header: Depth=2
                                        ;       Child Loop BB10_8 Depth 3
	s_and_b64 vcc, exec, s[4:5]
	s_cbranch_vccnz .LBB10_5
; %bb.7:                                ;   in Loop: Header=BB10_6 Depth=2
	v_lshl_add_u64 v[2:3], s[20:21], 0, v[0:1]
	v_mov_b32_e32 v5, s11
	s_mov_b32 s28, s10
.LBB10_8:                               ;   Parent Loop BB10_3 Depth=1
                                        ;     Parent Loop BB10_6 Depth=2
                                        ; =>    This Inner Loop Header: Depth=3
	v_lshl_add_u64 v[6:7], s[14:15], 0, v[2:3]
	global_load_ubyte v8, v[6:7], off
	s_add_i32 s28, s28, -1
	v_lshl_add_u64 v[6:7], s[12:13], 0, v[2:3]
	v_lshl_add_u64 v[2:3], v[2:3], 0, s[16:17]
	s_cmp_eq_u32 s28, 0
	s_waitcnt vmcnt(0)
	v_add_u16_e32 v5, v8, v5
	global_store_byte v[6:7], v5, off
	s_cbranch_scc0 .LBB10_8
	s_branch .LBB10_5
.LBB10_9:
	s_endpgm
	.section	.rodata,"a",@progbits
	.p2align	6, 0x0
	.amdhsa_kernel _ZN2at6native28tensor_kernel_scan_outer_dimIhmSt4plusIhEEEvPT_PKS4_jjjS4_T1_
		.amdhsa_group_segment_fixed_size 0
		.amdhsa_private_segment_fixed_size 0
		.amdhsa_kernarg_size 288
		.amdhsa_user_sgpr_count 2
		.amdhsa_user_sgpr_dispatch_ptr 0
		.amdhsa_user_sgpr_queue_ptr 0
		.amdhsa_user_sgpr_kernarg_segment_ptr 1
		.amdhsa_user_sgpr_dispatch_id 0
		.amdhsa_user_sgpr_kernarg_preload_length 0
		.amdhsa_user_sgpr_kernarg_preload_offset 0
		.amdhsa_user_sgpr_private_segment_size 0
		.amdhsa_uses_dynamic_stack 0
		.amdhsa_enable_private_segment 0
		.amdhsa_system_sgpr_workgroup_id_x 1
		.amdhsa_system_sgpr_workgroup_id_y 1
		.amdhsa_system_sgpr_workgroup_id_z 0
		.amdhsa_system_sgpr_workgroup_info 0
		.amdhsa_system_vgpr_workitem_id 0
		.amdhsa_next_free_vgpr 9
		.amdhsa_next_free_sgpr 29
		.amdhsa_accum_offset 12
		.amdhsa_reserve_vcc 1
		.amdhsa_float_round_mode_32 0
		.amdhsa_float_round_mode_16_64 0
		.amdhsa_float_denorm_mode_32 3
		.amdhsa_float_denorm_mode_16_64 3
		.amdhsa_dx10_clamp 1
		.amdhsa_ieee_mode 1
		.amdhsa_fp16_overflow 0
		.amdhsa_tg_split 0
		.amdhsa_exception_fp_ieee_invalid_op 0
		.amdhsa_exception_fp_denorm_src 0
		.amdhsa_exception_fp_ieee_div_zero 0
		.amdhsa_exception_fp_ieee_overflow 0
		.amdhsa_exception_fp_ieee_underflow 0
		.amdhsa_exception_fp_ieee_inexact 0
		.amdhsa_exception_int_div_zero 0
	.end_amdhsa_kernel
	.section	.text._ZN2at6native28tensor_kernel_scan_outer_dimIhmSt4plusIhEEEvPT_PKS4_jjjS4_T1_,"axG",@progbits,_ZN2at6native28tensor_kernel_scan_outer_dimIhmSt4plusIhEEEvPT_PKS4_jjjS4_T1_,comdat
.Lfunc_end10:
	.size	_ZN2at6native28tensor_kernel_scan_outer_dimIhmSt4plusIhEEEvPT_PKS4_jjjS4_T1_, .Lfunc_end10-_ZN2at6native28tensor_kernel_scan_outer_dimIhmSt4plusIhEEEvPT_PKS4_jjjS4_T1_
                                        ; -- End function
	.set _ZN2at6native28tensor_kernel_scan_outer_dimIhmSt4plusIhEEEvPT_PKS4_jjjS4_T1_.num_vgpr, 9
	.set _ZN2at6native28tensor_kernel_scan_outer_dimIhmSt4plusIhEEEvPT_PKS4_jjjS4_T1_.num_agpr, 0
	.set _ZN2at6native28tensor_kernel_scan_outer_dimIhmSt4plusIhEEEvPT_PKS4_jjjS4_T1_.numbered_sgpr, 29
	.set _ZN2at6native28tensor_kernel_scan_outer_dimIhmSt4plusIhEEEvPT_PKS4_jjjS4_T1_.num_named_barrier, 0
	.set _ZN2at6native28tensor_kernel_scan_outer_dimIhmSt4plusIhEEEvPT_PKS4_jjjS4_T1_.private_seg_size, 0
	.set _ZN2at6native28tensor_kernel_scan_outer_dimIhmSt4plusIhEEEvPT_PKS4_jjjS4_T1_.uses_vcc, 1
	.set _ZN2at6native28tensor_kernel_scan_outer_dimIhmSt4plusIhEEEvPT_PKS4_jjjS4_T1_.uses_flat_scratch, 0
	.set _ZN2at6native28tensor_kernel_scan_outer_dimIhmSt4plusIhEEEvPT_PKS4_jjjS4_T1_.has_dyn_sized_stack, 0
	.set _ZN2at6native28tensor_kernel_scan_outer_dimIhmSt4plusIhEEEvPT_PKS4_jjjS4_T1_.has_recursion, 0
	.set _ZN2at6native28tensor_kernel_scan_outer_dimIhmSt4plusIhEEEvPT_PKS4_jjjS4_T1_.has_indirect_call, 0
	.section	.AMDGPU.csdata,"",@progbits
; Kernel info:
; codeLenInByte = 308
; TotalNumSgprs: 35
; NumVgprs: 9
; NumAgprs: 0
; TotalNumVgprs: 9
; ScratchSize: 0
; MemoryBound: 0
; FloatMode: 240
; IeeeMode: 1
; LDSByteSize: 0 bytes/workgroup (compile time only)
; SGPRBlocks: 4
; VGPRBlocks: 1
; NumSGPRsForWavesPerEU: 35
; NumVGPRsForWavesPerEU: 9
; AccumOffset: 12
; Occupancy: 8
; WaveLimiterHint : 0
; COMPUTE_PGM_RSRC2:SCRATCH_EN: 0
; COMPUTE_PGM_RSRC2:USER_SGPR: 2
; COMPUTE_PGM_RSRC2:TRAP_HANDLER: 0
; COMPUTE_PGM_RSRC2:TGID_X_EN: 1
; COMPUTE_PGM_RSRC2:TGID_Y_EN: 1
; COMPUTE_PGM_RSRC2:TGID_Z_EN: 0
; COMPUTE_PGM_RSRC2:TIDIG_COMP_CNT: 0
; COMPUTE_PGM_RSRC3_GFX90A:ACCUM_OFFSET: 2
; COMPUTE_PGM_RSRC3_GFX90A:TG_SPLIT: 0
	.section	.text._ZN2at4cuda3cub15calc_block_sumsILi512ELi16ELb0EaaEEvPKT2_PT3_li,"axG",@progbits,_ZN2at4cuda3cub15calc_block_sumsILi512ELi16ELb0EaaEEvPKT2_PT3_li,comdat
	.protected	_ZN2at4cuda3cub15calc_block_sumsILi512ELi16ELb0EaaEEvPKT2_PT3_li ; -- Begin function _ZN2at4cuda3cub15calc_block_sumsILi512ELi16ELb0EaaEEvPKT2_PT3_li
	.globl	_ZN2at4cuda3cub15calc_block_sumsILi512ELi16ELb0EaaEEvPKT2_PT3_li
	.p2align	8
	.type	_ZN2at4cuda3cub15calc_block_sumsILi512ELi16ELb0EaaEEvPKT2_PT3_li,@function
_ZN2at4cuda3cub15calc_block_sumsILi512ELi16ELb0EaaEEvPKT2_PT3_li: ; @_ZN2at4cuda3cub15calc_block_sumsILi512ELi16ELb0EaaEEvPKT2_PT3_li
; %bb.0:
	s_load_dword s3, s[0:1], 0x18
	s_load_dwordx2 s[10:11], s[0:1], 0x10
	s_waitcnt lgkmcnt(0)
	s_lshl_b32 s4, s3, 13
	s_ashr_i32 s5, s4, 31
	s_mul_hi_u32 s6, s4, s2
	s_mul_i32 s5, s5, s2
	s_add_i32 s14, s6, s5
	s_mul_i32 s15, s4, s2
	s_sub_u32 s8, s10, s15
	s_subb_u32 s9, s11, s14
	v_cmp_lt_i64_e64 s[4:5], s[8:9], 1
	s_and_b64 vcc, exec, s[4:5]
	s_cbranch_vccnz .LBB11_54
; %bb.1:
	s_load_dwordx4 s[4:7], s[0:1], 0x0
	s_mov_b64 s[12:13], -1
	s_cmp_gt_i32 s3, 0
	s_mov_b64 s[0:1], -1
	s_cbranch_scc1 .LBB11_3
; %bb.2:
	s_mov_b64 s[0:1], 0
.LBB11_3:
	s_andn2_b64 vcc, exec, s[0:1]
	v_mov_b32_e32 v8, 0
	s_cbranch_vccnz .LBB11_52
; %bb.4:
	s_waitcnt lgkmcnt(0)
	s_add_u32 s4, s4, s15
	s_mul_i32 s11, s2, s3
	s_addc_u32 s5, s5, s14
	v_mov_b32_e32 v1, 0
	s_lshl_b32 s11, s11, 13
	v_mbcnt_lo_u32_b32 v4, -1, 0
	v_add_u32_e32 v9, 0x200, v0
	v_or_b32_e32 v10, 0x400, v0
	v_add_u32_e32 v11, 0x600, v0
	v_or_b32_e32 v12, 0x800, v0
	;; [unrolled: 2-line block ×7, first 2 shown]
	v_add_u32_e32 v23, 0x1e00, v0
	v_lshrrev_b32_e32 v24, 6, v0
	v_cmp_gt_u32_e64 s[0:1], 64, v0
	s_sub_i32 s14, s10, s11
	v_mov_b64_e32 v[2:3], 0x2000
	v_mbcnt_hi_u32_b32 v25, -1, v4
	v_mov_b64_e32 v[4:5], 0x2001
	v_mov_b32_e32 v8, v1
	s_branch .LBB11_6
.LBB11_5:                               ;   in Loop: Header=BB11_6 Depth=1
	s_add_u32 s4, s4, 0x2000
	s_addc_u32 s5, s5, 0
	s_add_u32 s8, s8, 0xffffe000
	s_addc_u32 s9, s9, -1
	s_addk_i32 s14, 0xe000
	s_add_i32 s3, s3, -1
	s_cmp_eq_u32 s3, 0
	s_mov_b64 s[12:13], -1
	s_cselect_b64 s[10:11], -1, 0
	s_barrier
	s_andn2_b64 vcc, exec, s[10:11]
	v_add_u16_e32 v8, v26, v8
	s_cbranch_vccz .LBB11_52
.LBB11_6:                               ; =>This Inner Loop Header: Depth=1
	v_cmp_lt_i64_e32 vcc, s[8:9], v[2:3]
	s_mov_b64 s[10:11], -1
	v_lshl_add_u64 v[6:7], s[4:5], 0, v[0:1]
                                        ; implicit-def: $vgpr26
	s_cbranch_vccnz .LBB11_9
; %bb.7:                                ;   in Loop: Header=BB11_6 Depth=1
	s_and_b64 vcc, exec, s[10:11]
	s_cbranch_vccnz .LBB11_32
.LBB11_8:                               ;   in Loop: Header=BB11_6 Depth=1
	v_cmp_lt_i64_e32 vcc, s[8:9], v[4:5]
	s_cbranch_vccz .LBB11_5
	s_branch .LBB11_37
.LBB11_9:                               ;   in Loop: Header=BB11_6 Depth=1
	v_cmp_gt_u32_e32 vcc, s14, v0
	v_mov_b32_e32 v26, 0
	v_mov_b32_e32 v27, 0
	;; [unrolled: 1-line block ×15, first 2 shown]
	s_and_saveexec_b64 s[10:11], vcc
	s_cbranch_execz .LBB11_11
; %bb.10:                               ;   in Loop: Header=BB11_6 Depth=1
	global_load_ubyte v27, v[6:7], off
	v_mov_b32_e32 v28, 0
	v_mov_b32_e32 v29, 0
	v_mov_b32_e32 v30, 0
	v_mov_b32_e32 v31, 0
	v_mov_b32_e32 v32, 0
	v_mov_b32_e32 v33, 0
	v_mov_b32_e32 v34, 0
	v_mov_b32_e32 v35, 0
	v_mov_b32_e32 v36, 0
	v_mov_b32_e32 v37, 0
	v_mov_b32_e32 v38, 0
	v_mov_b32_e32 v39, 0
	v_mov_b32_e32 v40, 0
.LBB11_11:                              ;   in Loop: Header=BB11_6 Depth=1
	s_or_b64 exec, exec, s[10:11]
	v_cmp_gt_u32_e32 vcc, s14, v9
	v_mov_b32_e32 v41, v26
	s_and_saveexec_b64 s[10:11], vcc
	s_cbranch_execnz .LBB11_38
; %bb.12:                               ;   in Loop: Header=BB11_6 Depth=1
	s_or_b64 exec, exec, s[10:11]
	v_cmp_gt_u32_e32 vcc, s14, v10
	s_and_saveexec_b64 s[10:11], vcc
	s_cbranch_execnz .LBB11_39
.LBB11_13:                              ;   in Loop: Header=BB11_6 Depth=1
	s_or_b64 exec, exec, s[10:11]
	v_cmp_gt_u32_e32 vcc, s14, v11
	s_and_saveexec_b64 s[10:11], vcc
	s_cbranch_execnz .LBB11_40
.LBB11_14:                              ;   in Loop: Header=BB11_6 Depth=1
	s_or_b64 exec, exec, s[10:11]
	v_cmp_gt_u32_e32 vcc, s14, v12
	s_and_saveexec_b64 s[10:11], vcc
	s_cbranch_execnz .LBB11_41
.LBB11_15:                              ;   in Loop: Header=BB11_6 Depth=1
	s_or_b64 exec, exec, s[10:11]
	v_cmp_gt_u32_e32 vcc, s14, v13
	s_and_saveexec_b64 s[10:11], vcc
	s_cbranch_execnz .LBB11_42
.LBB11_16:                              ;   in Loop: Header=BB11_6 Depth=1
	s_or_b64 exec, exec, s[10:11]
	v_cmp_gt_u32_e32 vcc, s14, v14
	s_and_saveexec_b64 s[10:11], vcc
	s_cbranch_execnz .LBB11_43
.LBB11_17:                              ;   in Loop: Header=BB11_6 Depth=1
	s_or_b64 exec, exec, s[10:11]
	v_cmp_gt_u32_e32 vcc, s14, v15
	s_and_saveexec_b64 s[10:11], vcc
	s_cbranch_execnz .LBB11_44
.LBB11_18:                              ;   in Loop: Header=BB11_6 Depth=1
	s_or_b64 exec, exec, s[10:11]
	v_cmp_gt_u32_e32 vcc, s14, v16
	s_and_saveexec_b64 s[10:11], vcc
	s_cbranch_execnz .LBB11_45
.LBB11_19:                              ;   in Loop: Header=BB11_6 Depth=1
	s_or_b64 exec, exec, s[10:11]
	v_cmp_gt_u32_e32 vcc, s14, v17
	s_and_saveexec_b64 s[10:11], vcc
	s_cbranch_execnz .LBB11_46
.LBB11_20:                              ;   in Loop: Header=BB11_6 Depth=1
	s_or_b64 exec, exec, s[10:11]
	v_cmp_gt_u32_e32 vcc, s14, v18
	s_and_saveexec_b64 s[10:11], vcc
	s_cbranch_execnz .LBB11_47
.LBB11_21:                              ;   in Loop: Header=BB11_6 Depth=1
	s_or_b64 exec, exec, s[10:11]
	v_cmp_gt_u32_e32 vcc, s14, v19
	s_and_saveexec_b64 s[10:11], vcc
	s_cbranch_execnz .LBB11_48
.LBB11_22:                              ;   in Loop: Header=BB11_6 Depth=1
	s_or_b64 exec, exec, s[10:11]
	v_cmp_gt_u32_e32 vcc, s14, v20
	s_and_saveexec_b64 s[10:11], vcc
	s_cbranch_execnz .LBB11_49
.LBB11_23:                              ;   in Loop: Header=BB11_6 Depth=1
	s_or_b64 exec, exec, s[10:11]
	v_cmp_gt_u32_e32 vcc, s14, v21
	s_and_saveexec_b64 s[10:11], vcc
	s_cbranch_execnz .LBB11_50
.LBB11_24:                              ;   in Loop: Header=BB11_6 Depth=1
	s_or_b64 exec, exec, s[10:11]
	v_cmp_gt_u32_e32 vcc, s14, v22
	s_and_saveexec_b64 s[10:11], vcc
	s_cbranch_execnz .LBB11_51
.LBB11_25:                              ;   in Loop: Header=BB11_6 Depth=1
	s_or_b64 exec, exec, s[10:11]
	v_cmp_gt_u32_e32 vcc, s14, v23
	s_and_saveexec_b64 s[10:11], vcc
	s_cbranch_execz .LBB11_27
.LBB11_26:                              ;   in Loop: Header=BB11_6 Depth=1
	v_add_co_u32_e32 v42, vcc, 0x1000, v6
	s_nop 1
	v_addc_co_u32_e32 v43, vcc, 0, v7, vcc
	global_load_ubyte v40, v[42:43], off offset:3584
.LBB11_27:                              ;   in Loop: Header=BB11_6 Depth=1
	s_or_b64 exec, exec, s[10:11]
	s_waitcnt vmcnt(0)
	v_add_u16_e32 v27, v41, v27
	v_add_u16_e32 v26, v27, v26
	;; [unrolled: 1-line block ×15, first 2 shown]
	v_and_b32_e32 v27, 0xff, v26
	v_cmp_eq_u32_e32 vcc, 0, v25
	s_nop 0
	v_mov_b32_dpp v27, v27 quad_perm:[1,0,3,2] row_mask:0xf bank_mask:0xf
	v_add_u16_e32 v26, v26, v27
	v_and_b32_e32 v27, 0xff, v26
	s_barrier
	s_nop 0
	v_mov_b32_dpp v27, v27 quad_perm:[2,3,0,1] row_mask:0xf bank_mask:0xf
	v_add_u16_e32 v26, v26, v27
	v_and_b32_e32 v27, 0xff, v26
	s_nop 1
	v_mov_b32_dpp v27, v27 row_ror:4 row_mask:0xf bank_mask:0xf
	v_add_u16_e32 v26, v26, v27
	v_and_b32_e32 v27, 0xff, v26
	s_nop 1
	v_mov_b32_dpp v27, v27 row_ror:8 row_mask:0xf bank_mask:0xf
	v_add_u16_e32 v26, v26, v27
	v_and_b32_e32 v27, 0xff, v26
	s_nop 1
	v_mov_b32_dpp v27, v27 row_bcast:15 row_mask:0xf bank_mask:0xf
	v_add_u16_e32 v26, v26, v27
	v_and_b32_e32 v27, 0xff, v26
	s_nop 1
	v_mov_b32_dpp v27, v27 row_bcast:31 row_mask:0xf bank_mask:0xf
	v_add_u16_e32 v26, v26, v27
	v_lshlrev_b32_e32 v27, 2, v25
	v_or_b32_e32 v28, 0xfc, v27
	v_and_b32_e32 v26, 0xff, v26
	ds_bpermute_b32 v26, v28, v26
	s_and_saveexec_b64 s[10:11], vcc
	s_cbranch_execz .LBB11_29
; %bb.28:                               ;   in Loop: Header=BB11_6 Depth=1
	s_waitcnt lgkmcnt(0)
	ds_write_b8 v24, v26
.LBB11_29:                              ;   in Loop: Header=BB11_6 Depth=1
	s_or_b64 exec, exec, s[10:11]
	s_waitcnt lgkmcnt(0)
	s_barrier
	s_and_saveexec_b64 s[10:11], s[0:1]
	s_cbranch_execz .LBB11_31
; %bb.30:                               ;   in Loop: Header=BB11_6 Depth=1
	v_and_b32_e32 v26, 7, v25
	ds_read_u8 v28, v26
	v_cmp_ne_u32_e32 vcc, 7, v26
	v_or_b32_e32 v27, 16, v27
	s_waitcnt lgkmcnt(0)
	v_and_b32_e32 v30, 0xff, v28
	v_addc_co_u32_e32 v29, vcc, 0, v25, vcc
	v_lshlrev_b32_e32 v29, 2, v29
	ds_bpermute_b32 v29, v29, v30
	v_cmp_gt_u32_e32 vcc, 6, v26
	s_waitcnt lgkmcnt(0)
	v_add_u16_e32 v28, v28, v29
	v_cndmask_b32_e64 v26, 0, 2, vcc
	v_add_lshl_u32 v26, v26, v25, 2
	v_and_b32_e32 v29, 0xff, v28
	ds_bpermute_b32 v26, v26, v29
	s_waitcnt lgkmcnt(0)
	v_add_u16_e32 v26, v28, v26
	v_and_b32_e32 v28, 0xff, v26
	ds_bpermute_b32 v27, v27, v28
	s_waitcnt lgkmcnt(0)
	v_add_u16_e32 v26, v26, v27
.LBB11_31:                              ;   in Loop: Header=BB11_6 Depth=1
	s_or_b64 exec, exec, s[10:11]
	s_branch .LBB11_8
.LBB11_32:                              ;   in Loop: Header=BB11_6 Depth=1
	global_load_ubyte v26, v[6:7], off
	global_load_ubyte v27, v[6:7], off offset:512
	global_load_ubyte v28, v[6:7], off offset:1024
	;; [unrolled: 1-line block ×7, first 2 shown]
	v_add_co_u32_e32 v6, vcc, 0x1000, v6
	s_nop 1
	v_addc_co_u32_e32 v7, vcc, 0, v7, vcc
	global_load_ubyte v34, v[6:7], off
	global_load_ubyte v35, v[6:7], off offset:512
	global_load_ubyte v36, v[6:7], off offset:1024
	;; [unrolled: 1-line block ×7, first 2 shown]
	v_lshlrev_b32_e32 v6, 2, v25
	v_cmp_eq_u32_e32 vcc, 0, v25
	s_barrier
	s_waitcnt vmcnt(14)
	v_add_u16_e32 v7, v27, v26
	s_waitcnt vmcnt(13)
	v_add_u16_e32 v7, v7, v28
	;; [unrolled: 2-line block ×15, first 2 shown]
	v_and_b32_e32 v26, 0xff, v7
	s_nop 1
	v_mov_b32_dpp v26, v26 quad_perm:[1,0,3,2] row_mask:0xf bank_mask:0xf
	v_add_u16_e32 v7, v7, v26
	v_and_b32_e32 v26, 0xff, v7
	s_nop 1
	v_mov_b32_dpp v26, v26 quad_perm:[2,3,0,1] row_mask:0xf bank_mask:0xf
	v_add_u16_e32 v7, v7, v26
	v_and_b32_e32 v26, 0xff, v7
	s_nop 1
	v_mov_b32_dpp v26, v26 row_ror:4 row_mask:0xf bank_mask:0xf
	v_add_u16_e32 v7, v7, v26
	v_and_b32_e32 v26, 0xff, v7
	s_nop 1
	v_mov_b32_dpp v26, v26 row_ror:8 row_mask:0xf bank_mask:0xf
	v_add_u16_e32 v7, v7, v26
	v_and_b32_e32 v26, 0xff, v7
	s_nop 1
	v_mov_b32_dpp v26, v26 row_bcast:15 row_mask:0xf bank_mask:0xf
	v_add_u16_e32 v7, v7, v26
	v_and_b32_e32 v26, 0xff, v7
	s_nop 1
	v_mov_b32_dpp v26, v26 row_bcast:31 row_mask:0xf bank_mask:0xf
	v_add_u16_e32 v7, v7, v26
	v_or_b32_e32 v26, 0xfc, v6
	v_and_b32_e32 v7, 0xff, v7
	ds_bpermute_b32 v26, v26, v7
	s_and_saveexec_b64 s[10:11], vcc
	s_cbranch_execz .LBB11_34
; %bb.33:                               ;   in Loop: Header=BB11_6 Depth=1
	s_waitcnt lgkmcnt(0)
	ds_write_b8 v24, v26
.LBB11_34:                              ;   in Loop: Header=BB11_6 Depth=1
	s_or_b64 exec, exec, s[10:11]
	s_waitcnt lgkmcnt(0)
	s_barrier
	s_and_saveexec_b64 s[10:11], s[0:1]
	s_cbranch_execz .LBB11_36
; %bb.35:                               ;   in Loop: Header=BB11_6 Depth=1
	v_and_b32_e32 v7, 7, v25
	ds_read_u8 v26, v7
	v_cmp_ne_u32_e32 vcc, 7, v7
	v_or_b32_e32 v6, 16, v6
	s_waitcnt lgkmcnt(0)
	v_and_b32_e32 v28, 0xff, v26
	v_addc_co_u32_e32 v27, vcc, 0, v25, vcc
	v_lshlrev_b32_e32 v27, 2, v27
	ds_bpermute_b32 v27, v27, v28
	v_cmp_gt_u32_e32 vcc, 6, v7
	s_waitcnt lgkmcnt(0)
	v_add_u16_e32 v26, v26, v27
	v_cndmask_b32_e64 v7, 0, 2, vcc
	v_add_lshl_u32 v7, v7, v25, 2
	v_and_b32_e32 v27, 0xff, v26
	ds_bpermute_b32 v7, v7, v27
	s_waitcnt lgkmcnt(0)
	v_add_u16_e32 v7, v26, v7
	v_and_b32_e32 v26, 0xff, v7
	ds_bpermute_b32 v6, v6, v26
	s_waitcnt lgkmcnt(0)
	v_add_u16_e32 v26, v7, v6
.LBB11_36:                              ;   in Loop: Header=BB11_6 Depth=1
	s_or_b64 exec, exec, s[10:11]
	v_cmp_lt_i64_e32 vcc, s[8:9], v[4:5]
	s_cbranch_vccz .LBB11_5
.LBB11_37:
	s_mov_b64 s[12:13], 0
                                        ; implicit-def: $sgpr4_sgpr5
                                        ; implicit-def: $sgpr8_sgpr9
                                        ; implicit-def: $sgpr14
                                        ; implicit-def: $sgpr3
	v_add_u16_e32 v8, v26, v8
	s_branch .LBB11_52
.LBB11_38:                              ;   in Loop: Header=BB11_6 Depth=1
	global_load_ubyte v41, v[6:7], off offset:512
	s_or_b64 exec, exec, s[10:11]
	v_cmp_gt_u32_e32 vcc, s14, v10
	s_and_saveexec_b64 s[10:11], vcc
	s_cbranch_execz .LBB11_13
.LBB11_39:                              ;   in Loop: Header=BB11_6 Depth=1
	global_load_ubyte v26, v[6:7], off offset:1024
	s_or_b64 exec, exec, s[10:11]
	v_cmp_gt_u32_e32 vcc, s14, v11
	s_and_saveexec_b64 s[10:11], vcc
	s_cbranch_execz .LBB11_14
.LBB11_40:                              ;   in Loop: Header=BB11_6 Depth=1
	global_load_ubyte v28, v[6:7], off offset:1536
	s_or_b64 exec, exec, s[10:11]
	v_cmp_gt_u32_e32 vcc, s14, v12
	s_and_saveexec_b64 s[10:11], vcc
	s_cbranch_execz .LBB11_15
.LBB11_41:                              ;   in Loop: Header=BB11_6 Depth=1
	global_load_ubyte v29, v[6:7], off offset:2048
	s_or_b64 exec, exec, s[10:11]
	v_cmp_gt_u32_e32 vcc, s14, v13
	s_and_saveexec_b64 s[10:11], vcc
	s_cbranch_execz .LBB11_16
.LBB11_42:                              ;   in Loop: Header=BB11_6 Depth=1
	global_load_ubyte v30, v[6:7], off offset:2560
	s_or_b64 exec, exec, s[10:11]
	v_cmp_gt_u32_e32 vcc, s14, v14
	s_and_saveexec_b64 s[10:11], vcc
	s_cbranch_execz .LBB11_17
.LBB11_43:                              ;   in Loop: Header=BB11_6 Depth=1
	global_load_ubyte v31, v[6:7], off offset:3072
	s_or_b64 exec, exec, s[10:11]
	v_cmp_gt_u32_e32 vcc, s14, v15
	s_and_saveexec_b64 s[10:11], vcc
	s_cbranch_execz .LBB11_18
.LBB11_44:                              ;   in Loop: Header=BB11_6 Depth=1
	global_load_ubyte v32, v[6:7], off offset:3584
	s_or_b64 exec, exec, s[10:11]
	v_cmp_gt_u32_e32 vcc, s14, v16
	s_and_saveexec_b64 s[10:11], vcc
	s_cbranch_execz .LBB11_19
.LBB11_45:                              ;   in Loop: Header=BB11_6 Depth=1
	v_add_co_u32_e32 v42, vcc, 0x1000, v6
	s_nop 1
	v_addc_co_u32_e32 v43, vcc, 0, v7, vcc
	global_load_ubyte v33, v[42:43], off
	s_or_b64 exec, exec, s[10:11]
	v_cmp_gt_u32_e32 vcc, s14, v17
	s_and_saveexec_b64 s[10:11], vcc
	s_cbranch_execz .LBB11_20
.LBB11_46:                              ;   in Loop: Header=BB11_6 Depth=1
	v_add_co_u32_e32 v42, vcc, 0x1000, v6
	s_nop 1
	v_addc_co_u32_e32 v43, vcc, 0, v7, vcc
	global_load_ubyte v34, v[42:43], off offset:512
	s_or_b64 exec, exec, s[10:11]
	v_cmp_gt_u32_e32 vcc, s14, v18
	s_and_saveexec_b64 s[10:11], vcc
	s_cbranch_execz .LBB11_21
.LBB11_47:                              ;   in Loop: Header=BB11_6 Depth=1
	v_add_co_u32_e32 v42, vcc, 0x1000, v6
	s_nop 1
	v_addc_co_u32_e32 v43, vcc, 0, v7, vcc
	global_load_ubyte v35, v[42:43], off offset:1024
	s_or_b64 exec, exec, s[10:11]
	v_cmp_gt_u32_e32 vcc, s14, v19
	s_and_saveexec_b64 s[10:11], vcc
	s_cbranch_execz .LBB11_22
.LBB11_48:                              ;   in Loop: Header=BB11_6 Depth=1
	v_add_co_u32_e32 v42, vcc, 0x1000, v6
	s_nop 1
	v_addc_co_u32_e32 v43, vcc, 0, v7, vcc
	global_load_ubyte v36, v[42:43], off offset:1536
	s_or_b64 exec, exec, s[10:11]
	v_cmp_gt_u32_e32 vcc, s14, v20
	s_and_saveexec_b64 s[10:11], vcc
	s_cbranch_execz .LBB11_23
.LBB11_49:                              ;   in Loop: Header=BB11_6 Depth=1
	v_add_co_u32_e32 v42, vcc, 0x1000, v6
	s_nop 1
	v_addc_co_u32_e32 v43, vcc, 0, v7, vcc
	global_load_ubyte v37, v[42:43], off offset:2048
	s_or_b64 exec, exec, s[10:11]
	v_cmp_gt_u32_e32 vcc, s14, v21
	s_and_saveexec_b64 s[10:11], vcc
	s_cbranch_execz .LBB11_24
.LBB11_50:                              ;   in Loop: Header=BB11_6 Depth=1
	v_add_co_u32_e32 v42, vcc, 0x1000, v6
	s_nop 1
	v_addc_co_u32_e32 v43, vcc, 0, v7, vcc
	global_load_ubyte v38, v[42:43], off offset:2560
	s_or_b64 exec, exec, s[10:11]
	v_cmp_gt_u32_e32 vcc, s14, v22
	s_and_saveexec_b64 s[10:11], vcc
	s_cbranch_execz .LBB11_25
.LBB11_51:                              ;   in Loop: Header=BB11_6 Depth=1
	v_add_co_u32_e32 v42, vcc, 0x1000, v6
	s_nop 1
	v_addc_co_u32_e32 v43, vcc, 0, v7, vcc
	global_load_ubyte v39, v[42:43], off offset:3072
	s_or_b64 exec, exec, s[10:11]
	v_cmp_gt_u32_e32 vcc, s14, v23
	s_and_saveexec_b64 s[10:11], vcc
	s_cbranch_execnz .LBB11_26
	s_branch .LBB11_27
.LBB11_52:
	v_cmp_eq_u32_e32 vcc, 0, v0
	s_and_b64 s[0:1], vcc, s[12:13]
	s_waitcnt lgkmcnt(0)
	s_and_saveexec_b64 s[4:5], s[0:1]
	s_cbranch_execz .LBB11_54
; %bb.53:
	s_add_u32 s0, s6, s2
	s_addc_u32 s1, s7, 0
	v_mov_b32_e32 v0, 0
	global_store_byte v0, v8, s[0:1]
.LBB11_54:
	s_endpgm
	.section	.rodata,"a",@progbits
	.p2align	6, 0x0
	.amdhsa_kernel _ZN2at4cuda3cub15calc_block_sumsILi512ELi16ELb0EaaEEvPKT2_PT3_li
		.amdhsa_group_segment_fixed_size 8
		.amdhsa_private_segment_fixed_size 0
		.amdhsa_kernarg_size 28
		.amdhsa_user_sgpr_count 2
		.amdhsa_user_sgpr_dispatch_ptr 0
		.amdhsa_user_sgpr_queue_ptr 0
		.amdhsa_user_sgpr_kernarg_segment_ptr 1
		.amdhsa_user_sgpr_dispatch_id 0
		.amdhsa_user_sgpr_kernarg_preload_length 0
		.amdhsa_user_sgpr_kernarg_preload_offset 0
		.amdhsa_user_sgpr_private_segment_size 0
		.amdhsa_uses_dynamic_stack 0
		.amdhsa_enable_private_segment 0
		.amdhsa_system_sgpr_workgroup_id_x 1
		.amdhsa_system_sgpr_workgroup_id_y 0
		.amdhsa_system_sgpr_workgroup_id_z 0
		.amdhsa_system_sgpr_workgroup_info 0
		.amdhsa_system_vgpr_workitem_id 0
		.amdhsa_next_free_vgpr 44
		.amdhsa_next_free_sgpr 16
		.amdhsa_accum_offset 44
		.amdhsa_reserve_vcc 1
		.amdhsa_float_round_mode_32 0
		.amdhsa_float_round_mode_16_64 0
		.amdhsa_float_denorm_mode_32 3
		.amdhsa_float_denorm_mode_16_64 3
		.amdhsa_dx10_clamp 1
		.amdhsa_ieee_mode 1
		.amdhsa_fp16_overflow 0
		.amdhsa_tg_split 0
		.amdhsa_exception_fp_ieee_invalid_op 0
		.amdhsa_exception_fp_denorm_src 0
		.amdhsa_exception_fp_ieee_div_zero 0
		.amdhsa_exception_fp_ieee_overflow 0
		.amdhsa_exception_fp_ieee_underflow 0
		.amdhsa_exception_fp_ieee_inexact 0
		.amdhsa_exception_int_div_zero 0
	.end_amdhsa_kernel
	.section	.text._ZN2at4cuda3cub15calc_block_sumsILi512ELi16ELb0EaaEEvPKT2_PT3_li,"axG",@progbits,_ZN2at4cuda3cub15calc_block_sumsILi512ELi16ELb0EaaEEvPKT2_PT3_li,comdat
.Lfunc_end11:
	.size	_ZN2at4cuda3cub15calc_block_sumsILi512ELi16ELb0EaaEEvPKT2_PT3_li, .Lfunc_end11-_ZN2at4cuda3cub15calc_block_sumsILi512ELi16ELb0EaaEEvPKT2_PT3_li
                                        ; -- End function
	.set _ZN2at4cuda3cub15calc_block_sumsILi512ELi16ELb0EaaEEvPKT2_PT3_li.num_vgpr, 44
	.set _ZN2at4cuda3cub15calc_block_sumsILi512ELi16ELb0EaaEEvPKT2_PT3_li.num_agpr, 0
	.set _ZN2at4cuda3cub15calc_block_sumsILi512ELi16ELb0EaaEEvPKT2_PT3_li.numbered_sgpr, 16
	.set _ZN2at4cuda3cub15calc_block_sumsILi512ELi16ELb0EaaEEvPKT2_PT3_li.num_named_barrier, 0
	.set _ZN2at4cuda3cub15calc_block_sumsILi512ELi16ELb0EaaEEvPKT2_PT3_li.private_seg_size, 0
	.set _ZN2at4cuda3cub15calc_block_sumsILi512ELi16ELb0EaaEEvPKT2_PT3_li.uses_vcc, 1
	.set _ZN2at4cuda3cub15calc_block_sumsILi512ELi16ELb0EaaEEvPKT2_PT3_li.uses_flat_scratch, 0
	.set _ZN2at4cuda3cub15calc_block_sumsILi512ELi16ELb0EaaEEvPKT2_PT3_li.has_dyn_sized_stack, 0
	.set _ZN2at4cuda3cub15calc_block_sumsILi512ELi16ELb0EaaEEvPKT2_PT3_li.has_recursion, 0
	.set _ZN2at4cuda3cub15calc_block_sumsILi512ELi16ELb0EaaEEvPKT2_PT3_li.has_indirect_call, 0
	.section	.AMDGPU.csdata,"",@progbits
; Kernel info:
; codeLenInByte = 2356
; TotalNumSgprs: 22
; NumVgprs: 44
; NumAgprs: 0
; TotalNumVgprs: 44
; ScratchSize: 0
; MemoryBound: 0
; FloatMode: 240
; IeeeMode: 1
; LDSByteSize: 8 bytes/workgroup (compile time only)
; SGPRBlocks: 2
; VGPRBlocks: 5
; NumSGPRsForWavesPerEU: 22
; NumVGPRsForWavesPerEU: 44
; AccumOffset: 44
; Occupancy: 8
; WaveLimiterHint : 1
; COMPUTE_PGM_RSRC2:SCRATCH_EN: 0
; COMPUTE_PGM_RSRC2:USER_SGPR: 2
; COMPUTE_PGM_RSRC2:TRAP_HANDLER: 0
; COMPUTE_PGM_RSRC2:TGID_X_EN: 1
; COMPUTE_PGM_RSRC2:TGID_Y_EN: 0
; COMPUTE_PGM_RSRC2:TGID_Z_EN: 0
; COMPUTE_PGM_RSRC2:TIDIG_COMP_CNT: 0
; COMPUTE_PGM_RSRC3_GFX90A:ACCUM_OFFSET: 10
; COMPUTE_PGM_RSRC3_GFX90A:TG_SPLIT: 0
	.section	.text._ZN2at4cuda3cub17final_scan_kernelILi512ELi16EaEEvPKT1_PS3_S6_li,"axG",@progbits,_ZN2at4cuda3cub17final_scan_kernelILi512ELi16EaEEvPKT1_PS3_S6_li,comdat
	.protected	_ZN2at4cuda3cub17final_scan_kernelILi512ELi16EaEEvPKT1_PS3_S6_li ; -- Begin function _ZN2at4cuda3cub17final_scan_kernelILi512ELi16EaEEvPKT1_PS3_S6_li
	.globl	_ZN2at4cuda3cub17final_scan_kernelILi512ELi16EaEEvPKT1_PS3_S6_li
	.p2align	8
	.type	_ZN2at4cuda3cub17final_scan_kernelILi512ELi16EaEEvPKT1_PS3_S6_li,@function
_ZN2at4cuda3cub17final_scan_kernelILi512ELi16EaEEvPKT1_PS3_S6_li: ; @_ZN2at4cuda3cub17final_scan_kernelILi512ELi16EaEEvPKT1_PS3_S6_li
; %bb.0:
	s_load_dword s33, s[0:1], 0x20
	s_load_dwordx8 s[36:43], s[0:1], 0x0
	s_waitcnt lgkmcnt(0)
	s_lshl_b32 s3, s33, 13
	s_ashr_i32 s4, s3, 31
	s_mul_hi_u32 s5, s3, s2
	s_mul_i32 s4, s4, s2
	s_add_i32 s31, s5, s4
	s_mul_i32 s30, s3, s2
	s_sub_u32 s44, s42, s30
	s_subb_u32 s45, s43, s31
	v_cmp_lt_i64_e64 s[4:5], s[44:45], 1
	s_and_b64 vcc, exec, s[4:5]
	s_cbranch_vccnz .LBB12_98
; %bb.1:
	v_cmp_gt_u32_e32 vcc, s2, v0
	v_mov_b32_e32 v1, 0
	s_and_saveexec_b64 s[4:5], vcc
	s_cbranch_execz .LBB12_3
; %bb.2:
	global_load_ubyte v1, v0, s[40:41]
.LBB12_3:
	s_or_b64 exec, exec, s[4:5]
	s_load_dword s0, s[0:1], 0x34
	s_waitcnt lgkmcnt(0)
	s_and_b32 s3, s0, 0xffff
	v_add_u32_e32 v2, s3, v0
	v_cmp_gt_u32_e32 vcc, s2, v2
	s_and_saveexec_b64 s[0:1], vcc
	s_cbranch_execz .LBB12_7
; %bb.4:
	s_mov_b64 s[4:5], 0
.LBB12_5:                               ; =>This Inner Loop Header: Depth=1
	global_load_ubyte v3, v2, s[40:41]
	v_add_u32_e32 v2, s3, v2
	v_cmp_le_u32_e32 vcc, s2, v2
	s_or_b64 s[4:5], vcc, s[4:5]
	s_waitcnt vmcnt(0)
	v_add_u16_e32 v1, v3, v1
	s_andn2_b64 exec, exec, s[4:5]
	s_cbranch_execnz .LBB12_5
; %bb.6:
	s_or_b64 exec, exec, s[4:5]
.LBB12_7:
	s_or_b64 exec, exec, s[0:1]
	v_mbcnt_lo_u32_b32 v2, -1, 0
	v_mbcnt_hi_u32_b32 v8, -1, v2
	s_waitcnt vmcnt(0)
	v_and_b32_e32 v2, 0xff, v1
	v_cmp_eq_u32_e64 s[0:1], 0, v8
	s_nop 0
	v_mov_b32_dpp v2, v2 quad_perm:[1,0,3,2] row_mask:0xf bank_mask:0xf
	v_add_u16_e32 v1, v1, v2
	v_and_b32_e32 v2, 0xff, v1
	s_nop 1
	v_mov_b32_dpp v2, v2 quad_perm:[2,3,0,1] row_mask:0xf bank_mask:0xf
	v_add_u16_e32 v1, v1, v2
	v_and_b32_e32 v2, 0xff, v1
	s_nop 1
	v_mov_b32_dpp v2, v2 row_ror:4 row_mask:0xf bank_mask:0xf
	v_add_u16_e32 v1, v1, v2
	v_and_b32_e32 v2, 0xff, v1
	s_nop 1
	v_mov_b32_dpp v2, v2 row_ror:8 row_mask:0xf bank_mask:0xf
	v_add_u16_e32 v1, v1, v2
	v_and_b32_e32 v2, 0xff, v1
	s_nop 1
	v_mov_b32_dpp v2, v2 row_bcast:15 row_mask:0xf bank_mask:0xf
	v_add_u16_e32 v1, v1, v2
	v_and_b32_e32 v2, 0xff, v1
	s_nop 1
	v_mov_b32_dpp v2, v2 row_bcast:31 row_mask:0xf bank_mask:0xf
	v_add_u16_e32 v1, v1, v2
	v_lshlrev_b32_e32 v2, 2, v8
	v_or_b32_e32 v3, 0xfc, v2
	v_and_b32_e32 v1, 0xff, v1
	ds_bpermute_b32 v22, v3, v1
	v_lshrrev_b32_e32 v1, 6, v0
	s_and_saveexec_b64 s[4:5], s[0:1]
	s_cbranch_execz .LBB12_9
; %bb.8:
	s_waitcnt lgkmcnt(0)
	ds_write_b8 v1, v22
.LBB12_9:
	s_or_b64 exec, exec, s[4:5]
	v_cmp_lt_u32_e64 s[34:35], 63, v0
	v_cmp_gt_u32_e64 s[4:5], 64, v0
	v_and_b32_e32 v3, 7, v8
	s_waitcnt lgkmcnt(0)
	s_barrier
	s_and_saveexec_b64 s[6:7], s[4:5]
	s_cbranch_execz .LBB12_11
; %bb.10:
	ds_read_u8 v4, v3
	v_cmp_ne_u32_e32 vcc, 7, v3
	v_or_b32_e32 v2, 16, v2
	s_waitcnt lgkmcnt(0)
	v_and_b32_e32 v6, 0xff, v4
	v_addc_co_u32_e32 v5, vcc, 0, v8, vcc
	v_lshlrev_b32_e32 v5, 2, v5
	ds_bpermute_b32 v5, v5, v6
	v_cmp_gt_u32_e32 vcc, 6, v3
	s_waitcnt lgkmcnt(0)
	v_add_u16_e32 v4, v4, v5
	v_cndmask_b32_e64 v6, 0, 2, vcc
	v_add_lshl_u32 v6, v6, v8, 2
	v_and_b32_e32 v5, 0xff, v4
	ds_bpermute_b32 v5, v6, v5
	s_waitcnt lgkmcnt(0)
	v_add_u16_e32 v4, v4, v5
	v_and_b32_e32 v5, 0xff, v4
	ds_bpermute_b32 v2, v2, v5
	s_waitcnt lgkmcnt(0)
	v_add_u16_e32 v22, v4, v2
.LBB12_11:
	s_or_b64 exec, exec, s[6:7]
	s_cmp_lt_i32 s33, 1
	s_barrier
	s_cbranch_scc1 .LBB12_98
; %bb.12:
	v_lshlrev_b32_e32 v2, 4, v0
	v_and_b32_e32 v4, 0x3c00, v2
	v_or_b32_e32 v23, v8, v4
	v_add_u32_e32 v24, 64, v23
	v_or_b32_e32 v25, 0x80, v23
	v_lshrrev_b32_e32 v6, 5, v24
	v_add_u32_e32 v26, 0xc0, v23
	v_and_b32_e32 v40, 0x1e4, v6
	v_lshrrev_b32_e32 v6, 5, v25
	v_or_b32_e32 v27, 0x100, v23
	v_and_b32_e32 v41, 0x1e4, v6
	v_lshrrev_b32_e32 v6, 5, v26
	v_add_u32_e32 v28, 0x140, v23
	v_and_b32_e32 v42, 0x1ec, v6
	v_lshrrev_b32_e32 v6, 5, v27
	v_or_b32_e32 v29, 0x180, v23
	v_and_b32_e32 v43, 0x1e8, v6
	;; [unrolled: 6-line block ×6, first 2 shown]
	v_lshrrev_b32_e32 v6, 5, v36
	v_add_u32_e32 v38, 0x3c0, v23
	v_and_b32_e32 v52, 0x1fc, v6
	v_lshrrev_b32_e32 v6, 5, v37
	v_and_b32_e32 v53, 0x1fc, v6
	v_lshrrev_b32_e32 v6, 5, v38
	v_and_b32_e32 v54, 0x3fc, v6
	v_and_b32_e32 v6, 0x3c0, v0
	v_add_u16_e32 v10, v8, v6
	v_add_u32_e32 v7, v8, v6
	v_lshrrev_b16_e32 v10, 1, v10
	v_min_u32_e32 v6, 0x1c0, v6
	v_mov_b32_e32 v2, 0
	v_and_b32_e32 v10, 0x3fc, v10
	v_or_b32_e32 v6, 63, v6
	v_mov_b32_e32 v5, v2
	v_lshl_add_u32 v55, v7, 4, v10
	v_and_b32_e32 v7, 15, v8
	v_cmp_eq_u32_e64 s[18:19], v0, v6
	v_cmp_eq_u32_e64 s[22:23], 0, v3
	v_cmp_lt_u32_e64 s[24:25], 1, v3
	v_cmp_lt_u32_e64 s[26:27], 3, v3
	v_add_u32_e32 v3, -1, v8
	v_and_b32_e32 v6, 64, v8
	v_lshrrev_b32_e32 v39, 5, v4
	v_cmp_eq_u32_e64 s[6:7], 0, v7
	v_cmp_lt_u32_e64 s[8:9], 1, v7
	v_cmp_lt_u32_e64 s[10:11], 3, v7
	;; [unrolled: 1-line block ×3, first 2 shown]
	v_and_b32_e32 v7, 16, v8
	v_cmp_lt_i32_e32 vcc, v3, v6
	v_lshl_add_u64 v[4:5], s[30:31], 0, v[4:5]
	s_mul_i32 s2, s2, s33
	v_cmp_eq_u32_e64 s[14:15], 0, v7
	v_cndmask_b32_e32 v3, v3, v8, vcc
	v_lshl_add_u64 v[6:7], s[38:39], 0, v[4:5]
	s_mov_b64 s[30:31], 0x3c0
	s_lshl_b32 s2, s2, 13
	v_mov_b32_e32 v9, v2
	v_cmp_lt_u32_e64 s[16:17], 31, v8
	v_cmp_gt_u32_e64 s[20:21], 8, v0
	v_add_u32_e32 v56, -1, v1
	v_lshlrev_b32_e32 v57, 2, v3
	v_cmp_eq_u32_e64 s[28:29], 0, v0
	v_lshl_add_u64 v[10:11], v[6:7], 0, s[30:31]
	v_lshl_add_u64 v[12:13], s[36:37], 0, v[4:5]
	s_sub_i32 s38, s42, s2
	s_mov_b64 s[2:3], 0x2000
	v_mov_b64_e32 v[14:15], 0x2000
	v_mov_b64_e32 v[16:17], 0x1fff
	s_mov_b32 s39, 0x7060004
	s_mov_b32 s40, 0x7000504
	;; [unrolled: 1-line block ×5, first 2 shown]
	v_mov_b64_e32 v[18:19], 0x2001
	s_branch .LBB12_14
.LBB12_13:                              ;   in Loop: Header=BB12_14 Depth=1
	s_andn2_b64 vcc, exec, s[30:31]
	s_cbranch_vccz .LBB12_98
.LBB12_14:                              ; =>This Inner Loop Header: Depth=1
	v_cmp_gt_i64_e32 vcc, s[44:45], v[16:17]
	s_mov_b64 s[36:37], -1
	v_cmp_gt_u32_e64 s[30:31], s38, v23
	s_cbranch_vccnz .LBB12_33
; %bb.15:                               ;   in Loop: Header=BB12_14 Depth=1
	v_mov_b32_e32 v4, v2
	v_mov_b32_e32 v5, v2
	;; [unrolled: 1-line block ×3, first 2 shown]
	v_mov_b64_e32 v[6:7], v[4:5]
	v_lshl_add_u64 v[20:21], v[12:13], 0, v[8:9]
	v_mov_b64_e32 v[4:5], v[2:3]
	s_and_saveexec_b64 s[36:37], s[30:31]
	s_cbranch_execnz .LBB12_83
; %bb.16:                               ;   in Loop: Header=BB12_14 Depth=1
	s_or_b64 exec, exec, s[36:37]
	v_cmp_gt_u32_e32 vcc, s38, v24
	s_and_saveexec_b64 s[30:31], vcc
	s_cbranch_execnz .LBB12_84
.LBB12_17:                              ;   in Loop: Header=BB12_14 Depth=1
	s_or_b64 exec, exec, s[30:31]
	v_cmp_gt_u32_e32 vcc, s38, v25
	s_and_saveexec_b64 s[30:31], vcc
	s_cbranch_execnz .LBB12_85
.LBB12_18:                              ;   in Loop: Header=BB12_14 Depth=1
	s_or_b64 exec, exec, s[30:31]
	v_cmp_gt_u32_e32 vcc, s38, v26
	s_and_saveexec_b64 s[30:31], vcc
	s_cbranch_execnz .LBB12_86
.LBB12_19:                              ;   in Loop: Header=BB12_14 Depth=1
	s_or_b64 exec, exec, s[30:31]
	v_cmp_gt_u32_e32 vcc, s38, v27
	s_and_saveexec_b64 s[30:31], vcc
	s_cbranch_execnz .LBB12_87
.LBB12_20:                              ;   in Loop: Header=BB12_14 Depth=1
	s_or_b64 exec, exec, s[30:31]
	v_cmp_gt_u32_e32 vcc, s38, v28
	s_and_saveexec_b64 s[30:31], vcc
	s_cbranch_execnz .LBB12_88
.LBB12_21:                              ;   in Loop: Header=BB12_14 Depth=1
	s_or_b64 exec, exec, s[30:31]
	v_cmp_gt_u32_e32 vcc, s38, v29
	s_and_saveexec_b64 s[30:31], vcc
	s_cbranch_execnz .LBB12_89
.LBB12_22:                              ;   in Loop: Header=BB12_14 Depth=1
	s_or_b64 exec, exec, s[30:31]
	v_cmp_gt_u32_e32 vcc, s38, v30
	s_and_saveexec_b64 s[30:31], vcc
	s_cbranch_execnz .LBB12_90
.LBB12_23:                              ;   in Loop: Header=BB12_14 Depth=1
	s_or_b64 exec, exec, s[30:31]
	v_cmp_gt_u32_e32 vcc, s38, v31
	s_and_saveexec_b64 s[30:31], vcc
	s_cbranch_execnz .LBB12_91
.LBB12_24:                              ;   in Loop: Header=BB12_14 Depth=1
	s_or_b64 exec, exec, s[30:31]
	v_cmp_gt_u32_e32 vcc, s38, v32
	s_and_saveexec_b64 s[30:31], vcc
	s_cbranch_execnz .LBB12_92
.LBB12_25:                              ;   in Loop: Header=BB12_14 Depth=1
	s_or_b64 exec, exec, s[30:31]
	v_cmp_gt_u32_e32 vcc, s38, v33
	s_and_saveexec_b64 s[30:31], vcc
	s_cbranch_execnz .LBB12_93
.LBB12_26:                              ;   in Loop: Header=BB12_14 Depth=1
	s_or_b64 exec, exec, s[30:31]
	v_cmp_gt_u32_e32 vcc, s38, v34
	s_and_saveexec_b64 s[30:31], vcc
	s_cbranch_execnz .LBB12_94
.LBB12_27:                              ;   in Loop: Header=BB12_14 Depth=1
	s_or_b64 exec, exec, s[30:31]
	v_cmp_gt_u32_e32 vcc, s38, v35
	s_and_saveexec_b64 s[30:31], vcc
	s_cbranch_execnz .LBB12_95
.LBB12_28:                              ;   in Loop: Header=BB12_14 Depth=1
	s_or_b64 exec, exec, s[30:31]
	v_cmp_gt_u32_e32 vcc, s38, v36
	s_and_saveexec_b64 s[30:31], vcc
	s_cbranch_execnz .LBB12_96
.LBB12_29:                              ;   in Loop: Header=BB12_14 Depth=1
	s_or_b64 exec, exec, s[30:31]
	v_cmp_gt_u32_e32 vcc, s38, v37
	s_and_saveexec_b64 s[30:31], vcc
	s_cbranch_execnz .LBB12_97
.LBB12_30:                              ;   in Loop: Header=BB12_14 Depth=1
	s_or_b64 exec, exec, s[30:31]
	v_cmp_gt_u32_e32 vcc, s38, v38
	s_and_saveexec_b64 s[30:31], vcc
	s_cbranch_execz .LBB12_32
.LBB12_31:                              ;   in Loop: Header=BB12_14 Depth=1
	global_load_ubyte v3, v[20:21], off offset:960
	s_waitcnt vmcnt(0)
	v_perm_b32 v7, v7, v3, s41
.LBB12_32:                              ;   in Loop: Header=BB12_14 Depth=1
	s_or_b64 exec, exec, s[30:31]
	v_add_u32_e32 v3, v39, v23
	ds_write_b8 v3, v4
	v_lshrrev_b32_e32 v3, 8, v4
	v_add_u32_e32 v20, v40, v23
	ds_write_b8 v20, v3 offset:64
	v_add_u32_e32 v3, v41, v23
	ds_write_b8_d16_hi v3, v4 offset:128
	v_lshrrev_b32_e32 v3, 24, v4
	v_add_u32_e32 v4, v42, v23
	ds_write_b8 v4, v3 offset:192
	v_add_u32_e32 v3, v43, v23
	ds_write_b8 v3, v5 offset:256
	v_lshrrev_b32_e32 v3, 8, v5
	v_add_u32_e32 v4, v44, v23
	ds_write_b8 v4, v3 offset:320
	v_add_u32_e32 v3, v45, v23
	ds_write_b8_d16_hi v3, v5 offset:384
	v_lshrrev_b32_e32 v3, 24, v5
	v_add_u32_e32 v4, v46, v23
	ds_write_b8 v4, v3 offset:448
	v_add_u32_e32 v3, v47, v23
	ds_write_b8 v3, v6 offset:512
	;; [unrolled: 10-line block ×3, first 2 shown]
	v_lshrrev_b32_e32 v3, 8, v7
	v_add_u32_e32 v4, v52, v23
	ds_write_b8 v4, v3 offset:832
	v_add_u32_e32 v3, v53, v23
	ds_write_b8_d16_hi v3, v7 offset:896
	v_lshrrev_b32_e32 v3, 24, v7
	v_add_u32_e32 v4, v54, v23
	s_mov_b64 s[36:37], 0
	ds_write_b8 v4, v3 offset:960
	; wave barrier
.LBB12_33:                              ;   in Loop: Header=BB12_14 Depth=1
	s_and_b64 vcc, exec, s[36:37]
	v_add_u32_e32 v3, v39, v23
	v_add_u32_e32 v20, v40, v23
	;; [unrolled: 1-line block ×16, first 2 shown]
	s_cbranch_vccz .LBB12_35
; %bb.34:                               ;   in Loop: Header=BB12_14 Depth=1
	v_lshl_add_u64 v[4:5], v[12:13], 0, v[8:9]
	global_load_ubyte v6, v[4:5], off
	global_load_ubyte v7, v[4:5], off offset:64
	global_load_ubyte v71, v[4:5], off offset:128
	;; [unrolled: 1-line block ×7, first 2 shown]
	s_waitcnt lgkmcnt(0)
	global_load_ubyte v77, v[4:5], off offset:512
	global_load_ubyte v78, v[4:5], off offset:576
	;; [unrolled: 1-line block ×7, first 2 shown]
	s_nop 0
	global_load_ubyte v4, v[4:5], off offset:960
	s_waitcnt vmcnt(15)
	ds_write_b8 v3, v6
	s_waitcnt vmcnt(14)
	ds_write_b8 v20, v7 offset:64
	s_waitcnt vmcnt(13)
	ds_write_b8 v21, v71 offset:128
	;; [unrolled: 2-line block ×15, first 2 shown]
	; wave barrier
.LBB12_35:                              ;   in Loop: Header=BB12_14 Depth=1
	ds_read2_b32 v[6:7], v55 offset1:1
	ds_read2_b32 v[4:5], v55 offset0:2 offset1:3
	s_waitcnt lgkmcnt(0)
	s_barrier
	v_lshrrev_b32_e32 v74, 8, v6
	v_add_u16_e32 v75, v74, v6
	v_add_u16_sdwa v75, v75, v6 dst_sel:DWORD dst_unused:UNUSED_PAD src0_sel:DWORD src1_sel:WORD_1
	v_add_u16_sdwa v75, v75, v6 dst_sel:DWORD dst_unused:UNUSED_PAD src0_sel:DWORD src1_sel:BYTE_3
	v_lshrrev_b32_e32 v73, 8, v7
	v_add_u16_e32 v75, v75, v7
	v_add_u16_e32 v75, v75, v73
	v_add_u16_sdwa v75, v75, v7 dst_sel:DWORD dst_unused:UNUSED_PAD src0_sel:DWORD src1_sel:WORD_1
	v_add_u16_sdwa v75, v75, v7 dst_sel:DWORD dst_unused:UNUSED_PAD src0_sel:DWORD src1_sel:BYTE_3
	v_lshrrev_b32_e32 v72, 8, v4
	v_add_u16_e32 v75, v75, v4
	v_add_u16_e32 v75, v75, v72
	v_add_u16_sdwa v75, v75, v4 dst_sel:DWORD dst_unused:UNUSED_PAD src0_sel:DWORD src1_sel:WORD_1
	v_add_u16_sdwa v75, v75, v4 dst_sel:DWORD dst_unused:UNUSED_PAD src0_sel:DWORD src1_sel:BYTE_3
	v_lshrrev_b32_e32 v71, 8, v5
	v_add_u16_e32 v75, v75, v5
	v_add_u16_e32 v75, v75, v71
	v_add_u16_sdwa v75, v75, v5 dst_sel:DWORD dst_unused:UNUSED_PAD src0_sel:DWORD src1_sel:WORD_1
	v_add_u16_sdwa v75, v75, v5 dst_sel:DWORD dst_unused:UNUSED_PAD src0_sel:DWORD src1_sel:BYTE_3
	v_and_b32_e32 v76, 0xff, v75
	s_nop 1
	v_mov_b32_dpp v76, v76 row_shr:1 row_mask:0xf bank_mask:0xf
	v_cndmask_b32_e64 v76, v76, 0, s[6:7]
	v_add_u16_e32 v75, v75, v76
	v_and_b32_e32 v76, 0xff, v75
	s_nop 1
	v_mov_b32_dpp v76, v76 row_shr:2 row_mask:0xf bank_mask:0xf
	v_cndmask_b32_e64 v76, 0, v76, s[8:9]
	v_add_u16_e32 v75, v75, v76
	v_and_b32_e32 v76, 0xff, v75
	s_nop 1
	v_mov_b32_dpp v76, v76 row_shr:4 row_mask:0xf bank_mask:0xf
	v_cndmask_b32_e64 v76, 0, v76, s[10:11]
	v_add_u16_e32 v75, v75, v76
	v_and_b32_e32 v76, 0xff, v75
	s_nop 1
	v_mov_b32_dpp v76, v76 row_shr:8 row_mask:0xf bank_mask:0xf
	v_cndmask_b32_e64 v76, 0, v76, s[12:13]
	v_add_u16_e32 v75, v75, v76
	v_and_b32_e32 v76, 0xff, v75
	s_nop 1
	v_mov_b32_dpp v76, v76 row_bcast:15 row_mask:0xf bank_mask:0xf
	v_cndmask_b32_e64 v76, v76, 0, s[14:15]
	v_add_u16_e32 v75, v75, v76
	v_and_b32_e32 v76, 0xff, v75
	s_nop 1
	v_mov_b32_dpp v76, v76 row_bcast:31 row_mask:0xf bank_mask:0xf
	v_cndmask_b32_e64 v76, 0, v76, s[16:17]
	v_add_u16_e32 v75, v75, v76
	s_and_saveexec_b64 s[30:31], s[18:19]
; %bb.36:                               ;   in Loop: Header=BB12_14 Depth=1
	ds_write_b8 v1, v75
; %bb.37:                               ;   in Loop: Header=BB12_14 Depth=1
	s_or_b64 exec, exec, s[30:31]
	s_waitcnt lgkmcnt(0)
	s_barrier
	s_and_saveexec_b64 s[30:31], s[20:21]
	s_cbranch_execz .LBB12_39
; %bb.38:                               ;   in Loop: Header=BB12_14 Depth=1
	ds_read_u8 v76, v0
	s_waitcnt lgkmcnt(0)
	v_and_b32_e32 v77, 0xff, v76
	s_nop 1
	v_mov_b32_dpp v77, v77 row_shr:1 row_mask:0xf bank_mask:0xf
	v_cndmask_b32_e64 v77, v77, 0, s[22:23]
	v_add_u16_e32 v76, v77, v76
	v_and_b32_e32 v77, 0xff, v76
	s_nop 1
	v_mov_b32_dpp v77, v77 row_shr:2 row_mask:0xf bank_mask:0xf
	v_cndmask_b32_e64 v77, 0, v77, s[24:25]
	v_add_u16_e32 v76, v76, v77
	;; [unrolled: 5-line block ×3, first 2 shown]
	ds_write_b8 v0, v76
.LBB12_39:                              ;   in Loop: Header=BB12_14 Depth=1
	s_or_b64 exec, exec, s[30:31]
	s_waitcnt lgkmcnt(0)
	s_barrier
                                        ; implicit-def: $vgpr76
	s_and_saveexec_b64 s[30:31], s[34:35]
	s_cbranch_execz .LBB12_41
; %bb.40:                               ;   in Loop: Header=BB12_14 Depth=1
	ds_read_u8 v76, v56
	s_waitcnt lgkmcnt(0)
	v_add_u16_e32 v75, v76, v75
.LBB12_41:                              ;   in Loop: Header=BB12_14 Depth=1
	s_or_b64 exec, exec, s[30:31]
	v_and_b32_e32 v75, 0xff, v75
	ds_bpermute_b32 v75, v57, v75
	s_and_saveexec_b64 s[30:31], s[4:5]
	s_cbranch_execz .LBB12_45
; %bb.42:                               ;   in Loop: Header=BB12_14 Depth=1
	ds_read_u8 v77, v2 offset:7
	s_and_saveexec_b64 s[36:37], s[28:29]
; %bb.43:                               ;   in Loop: Header=BB12_14 Depth=1
	ds_write_b8 v2, v22 offset:7
; %bb.44:                               ;   in Loop: Header=BB12_14 Depth=1
	s_or_b64 exec, exec, s[36:37]
	s_waitcnt lgkmcnt(0)
	v_add_u16_e32 v22, v77, v22
.LBB12_45:                              ;   in Loop: Header=BB12_14 Depth=1
	s_or_b64 exec, exec, s[30:31]
	s_waitcnt lgkmcnt(0)
	s_barrier
	ds_read_u8 v77, v2 offset:7
	v_cndmask_b32_e64 v75, v75, v76, s[0:1]
	v_cndmask_b32_e64 v75, v75, 0, s[28:29]
	v_add_u16_e32 v75, v75, v6
	v_cmp_lt_i64_e32 vcc, s[44:45], v[14:15]
	s_waitcnt lgkmcnt(0)
	v_add_u16_e32 v75, v75, v77
	v_add_u16_e32 v74, v75, v74
	v_add_u16_sdwa v76, v74, v6 dst_sel:DWORD dst_unused:UNUSED_PAD src0_sel:DWORD src1_sel:WORD_1
	v_add_u16_sdwa v77, v76, v6 dst_sel:DWORD dst_unused:UNUSED_PAD src0_sel:DWORD src1_sel:BYTE_3
	v_add_u16_e32 v6, v77, v7
	v_add_u16_e32 v73, v6, v73
	v_add_u16_sdwa v78, v73, v7 dst_sel:DWORD dst_unused:UNUSED_PAD src0_sel:DWORD src1_sel:WORD_1
	v_add_u16_sdwa v7, v78, v7 dst_sel:DWORD dst_unused:UNUSED_PAD src0_sel:DWORD src1_sel:BYTE_3
	;; [unrolled: 4-line block ×4, first 2 shown]
	s_and_b64 vcc, exec, vcc
	v_perm_b32 v6, v6, v73, s43
	v_perm_b32 v7, v78, v7, s43
	;; [unrolled: 1-line block ×8, first 2 shown]
	v_lshl_add_u64 v[4:5], v[10:11], 0, v[8:9]
	s_barrier
	s_cbranch_vccz .LBB12_68
; %bb.46:                               ;   in Loop: Header=BB12_14 Depth=1
	v_lshl_or_b32 v77, v7, 16, v6
	v_lshl_or_b32 v78, v73, 16, v71
	ds_write2_b32 v55, v78, v77 offset1:1
	v_lshl_or_b32 v77, v74, 16, v72
	v_lshl_or_b32 v78, v76, 16, v75
	ds_write2_b32 v55, v78, v77 offset0:2 offset1:3
	; wave barrier
	ds_read_u8 v92, v3
	ds_read_u8 v91, v20 offset:64
	ds_read_u8 v90, v21 offset:128
	;; [unrolled: 1-line block ×15, first 2 shown]
	v_cmp_gt_u32_e32 vcc, s38, v23
	s_and_saveexec_b64 s[30:31], vcc
	s_cbranch_execnz .LBB12_69
; %bb.47:                               ;   in Loop: Header=BB12_14 Depth=1
	s_or_b64 exec, exec, s[30:31]
	v_cmp_gt_u32_e32 vcc, s38, v24
	s_and_saveexec_b64 s[30:31], vcc
	s_cbranch_execnz .LBB12_70
.LBB12_48:                              ;   in Loop: Header=BB12_14 Depth=1
	s_or_b64 exec, exec, s[30:31]
	v_cmp_gt_u32_e32 vcc, s38, v25
	s_and_saveexec_b64 s[30:31], vcc
	s_cbranch_execnz .LBB12_71
.LBB12_49:                              ;   in Loop: Header=BB12_14 Depth=1
	s_or_b64 exec, exec, s[30:31]
	v_cmp_gt_u32_e32 vcc, s38, v26
	s_and_saveexec_b64 s[30:31], vcc
	s_cbranch_execnz .LBB12_72
.LBB12_50:                              ;   in Loop: Header=BB12_14 Depth=1
	s_or_b64 exec, exec, s[30:31]
	v_cmp_gt_u32_e32 vcc, s38, v27
	s_and_saveexec_b64 s[30:31], vcc
	s_cbranch_execnz .LBB12_73
.LBB12_51:                              ;   in Loop: Header=BB12_14 Depth=1
	s_or_b64 exec, exec, s[30:31]
	v_cmp_gt_u32_e32 vcc, s38, v28
	s_and_saveexec_b64 s[30:31], vcc
	s_cbranch_execnz .LBB12_74
.LBB12_52:                              ;   in Loop: Header=BB12_14 Depth=1
	s_or_b64 exec, exec, s[30:31]
	v_cmp_gt_u32_e32 vcc, s38, v29
	s_and_saveexec_b64 s[30:31], vcc
	s_cbranch_execnz .LBB12_75
.LBB12_53:                              ;   in Loop: Header=BB12_14 Depth=1
	s_or_b64 exec, exec, s[30:31]
	v_cmp_gt_u32_e32 vcc, s38, v30
	s_and_saveexec_b64 s[30:31], vcc
	s_cbranch_execnz .LBB12_76
.LBB12_54:                              ;   in Loop: Header=BB12_14 Depth=1
	s_or_b64 exec, exec, s[30:31]
	v_cmp_gt_u32_e32 vcc, s38, v31
	s_and_saveexec_b64 s[30:31], vcc
	s_cbranch_execnz .LBB12_77
.LBB12_55:                              ;   in Loop: Header=BB12_14 Depth=1
	s_or_b64 exec, exec, s[30:31]
	v_cmp_gt_u32_e32 vcc, s38, v32
	s_and_saveexec_b64 s[30:31], vcc
	s_cbranch_execnz .LBB12_78
.LBB12_56:                              ;   in Loop: Header=BB12_14 Depth=1
	s_or_b64 exec, exec, s[30:31]
	v_cmp_gt_u32_e32 vcc, s38, v33
	s_and_saveexec_b64 s[30:31], vcc
	s_cbranch_execnz .LBB12_79
.LBB12_57:                              ;   in Loop: Header=BB12_14 Depth=1
	s_or_b64 exec, exec, s[30:31]
	v_cmp_gt_u32_e32 vcc, s38, v34
	s_and_saveexec_b64 s[30:31], vcc
	s_cbranch_execnz .LBB12_80
.LBB12_58:                              ;   in Loop: Header=BB12_14 Depth=1
	s_or_b64 exec, exec, s[30:31]
	v_cmp_gt_u32_e32 vcc, s38, v35
	s_and_saveexec_b64 s[30:31], vcc
	s_cbranch_execnz .LBB12_81
.LBB12_59:                              ;   in Loop: Header=BB12_14 Depth=1
	s_or_b64 exec, exec, s[30:31]
	v_cmp_gt_u32_e32 vcc, s38, v36
	s_and_saveexec_b64 s[30:31], vcc
	s_cbranch_execnz .LBB12_82
.LBB12_60:                              ;   in Loop: Header=BB12_14 Depth=1
	s_or_b64 exec, exec, s[30:31]
	v_cmp_gt_u32_e32 vcc, s38, v37
	s_and_saveexec_b64 s[30:31], vcc
	s_cbranch_execz .LBB12_62
.LBB12_61:                              ;   in Loop: Header=BB12_14 Depth=1
	s_waitcnt lgkmcnt(1)
	global_store_byte v[4:5], v78, off offset:-64
.LBB12_62:                              ;   in Loop: Header=BB12_14 Depth=1
	s_or_b64 exec, exec, s[30:31]
	v_cmp_gt_u32_e64 s[30:31], s38, v38
	s_branch .LBB12_64
.LBB12_63:                              ;   in Loop: Header=BB12_14 Depth=1
	v_lshl_or_b32 v6, v7, 16, v6
	v_lshl_or_b32 v7, v73, 16, v71
	ds_write2_b32 v55, v7, v6 offset1:1
	v_lshl_or_b32 v6, v74, 16, v72
	v_lshl_or_b32 v7, v76, 16, v75
	ds_write2_b32 v55, v7, v6 offset0:2 offset1:3
	; wave barrier
	ds_read_u8 v3, v3
	ds_read_u8 v6, v20 offset:64
	ds_read_u8 v7, v21 offset:128
	;; [unrolled: 1-line block ×14, first 2 shown]
	s_waitcnt lgkmcnt(14)
	ds_read_u8 v77, v70 offset:960
	s_or_b64 s[30:31], s[30:31], exec
	global_store_byte v[4:5], v3, off offset:-960
	s_waitcnt lgkmcnt(14)
	global_store_byte v[4:5], v6, off offset:-896
	s_waitcnt lgkmcnt(13)
	;; [unrolled: 2-line block ×14, first 2 shown]
	global_store_byte v[4:5], v67, off offset:-64
.LBB12_64:                              ;   in Loop: Header=BB12_14 Depth=1
	s_and_saveexec_b64 s[36:37], s[30:31]
	s_cbranch_execz .LBB12_66
; %bb.65:                               ;   in Loop: Header=BB12_14 Depth=1
	s_waitcnt lgkmcnt(0)
	global_store_byte v[4:5], v77, off
.LBB12_66:                              ;   in Loop: Header=BB12_14 Depth=1
	s_or_b64 exec, exec, s[36:37]
	v_cmp_lt_i64_e32 vcc, s[44:45], v[18:19]
	s_mov_b64 s[30:31], -1
	s_cbranch_vccnz .LBB12_13
; %bb.67:                               ;   in Loop: Header=BB12_14 Depth=1
	s_add_u32 s44, s44, 0xffffe000
	s_addc_u32 s45, s45, -1
	s_add_i32 s33, s33, -1
	s_addk_i32 s38, 0xe000
	s_cmp_eq_u32 s33, 0
	v_lshl_add_u64 v[10:11], v[10:11], 0, s[2:3]
	v_lshl_add_u64 v[12:13], v[12:13], 0, s[2:3]
	s_cselect_b64 s[30:31], -1, 0
	s_waitcnt lgkmcnt(0)
	s_barrier
	s_branch .LBB12_13
.LBB12_68:                              ;   in Loop: Header=BB12_14 Depth=1
	s_mov_b64 s[30:31], 0
                                        ; implicit-def: $vgpr77
	s_cbranch_execnz .LBB12_63
	s_branch .LBB12_64
.LBB12_69:                              ;   in Loop: Header=BB12_14 Depth=1
	s_waitcnt lgkmcnt(14)
	global_store_byte v[4:5], v92, off offset:-960
	s_or_b64 exec, exec, s[30:31]
	v_cmp_gt_u32_e32 vcc, s38, v24
	s_and_saveexec_b64 s[30:31], vcc
	s_cbranch_execz .LBB12_48
.LBB12_70:                              ;   in Loop: Header=BB12_14 Depth=1
	s_waitcnt lgkmcnt(14)
	global_store_byte v[4:5], v91, off offset:-896
	s_or_b64 exec, exec, s[30:31]
	v_cmp_gt_u32_e32 vcc, s38, v25
	s_and_saveexec_b64 s[30:31], vcc
	s_cbranch_execz .LBB12_49
.LBB12_71:                              ;   in Loop: Header=BB12_14 Depth=1
	s_waitcnt lgkmcnt(13)
	global_store_byte v[4:5], v90, off offset:-832
	s_or_b64 exec, exec, s[30:31]
	v_cmp_gt_u32_e32 vcc, s38, v26
	s_and_saveexec_b64 s[30:31], vcc
	s_cbranch_execz .LBB12_50
.LBB12_72:                              ;   in Loop: Header=BB12_14 Depth=1
	s_waitcnt lgkmcnt(12)
	global_store_byte v[4:5], v89, off offset:-768
	s_or_b64 exec, exec, s[30:31]
	v_cmp_gt_u32_e32 vcc, s38, v27
	s_and_saveexec_b64 s[30:31], vcc
	s_cbranch_execz .LBB12_51
.LBB12_73:                              ;   in Loop: Header=BB12_14 Depth=1
	s_waitcnt lgkmcnt(11)
	global_store_byte v[4:5], v88, off offset:-704
	s_or_b64 exec, exec, s[30:31]
	v_cmp_gt_u32_e32 vcc, s38, v28
	s_and_saveexec_b64 s[30:31], vcc
	s_cbranch_execz .LBB12_52
.LBB12_74:                              ;   in Loop: Header=BB12_14 Depth=1
	s_waitcnt lgkmcnt(10)
	global_store_byte v[4:5], v87, off offset:-640
	s_or_b64 exec, exec, s[30:31]
	v_cmp_gt_u32_e32 vcc, s38, v29
	s_and_saveexec_b64 s[30:31], vcc
	s_cbranch_execz .LBB12_53
.LBB12_75:                              ;   in Loop: Header=BB12_14 Depth=1
	s_waitcnt lgkmcnt(9)
	global_store_byte v[4:5], v86, off offset:-576
	s_or_b64 exec, exec, s[30:31]
	v_cmp_gt_u32_e32 vcc, s38, v30
	s_and_saveexec_b64 s[30:31], vcc
	s_cbranch_execz .LBB12_54
.LBB12_76:                              ;   in Loop: Header=BB12_14 Depth=1
	s_waitcnt lgkmcnt(8)
	global_store_byte v[4:5], v85, off offset:-512
	s_or_b64 exec, exec, s[30:31]
	v_cmp_gt_u32_e32 vcc, s38, v31
	s_and_saveexec_b64 s[30:31], vcc
	s_cbranch_execz .LBB12_55
.LBB12_77:                              ;   in Loop: Header=BB12_14 Depth=1
	s_waitcnt lgkmcnt(7)
	global_store_byte v[4:5], v84, off offset:-448
	s_or_b64 exec, exec, s[30:31]
	v_cmp_gt_u32_e32 vcc, s38, v32
	s_and_saveexec_b64 s[30:31], vcc
	s_cbranch_execz .LBB12_56
.LBB12_78:                              ;   in Loop: Header=BB12_14 Depth=1
	s_waitcnt lgkmcnt(6)
	global_store_byte v[4:5], v83, off offset:-384
	s_or_b64 exec, exec, s[30:31]
	v_cmp_gt_u32_e32 vcc, s38, v33
	s_and_saveexec_b64 s[30:31], vcc
	s_cbranch_execz .LBB12_57
.LBB12_79:                              ;   in Loop: Header=BB12_14 Depth=1
	s_waitcnt lgkmcnt(5)
	global_store_byte v[4:5], v82, off offset:-320
	s_or_b64 exec, exec, s[30:31]
	v_cmp_gt_u32_e32 vcc, s38, v34
	s_and_saveexec_b64 s[30:31], vcc
	s_cbranch_execz .LBB12_58
.LBB12_80:                              ;   in Loop: Header=BB12_14 Depth=1
	s_waitcnt lgkmcnt(4)
	global_store_byte v[4:5], v81, off offset:-256
	s_or_b64 exec, exec, s[30:31]
	v_cmp_gt_u32_e32 vcc, s38, v35
	s_and_saveexec_b64 s[30:31], vcc
	s_cbranch_execz .LBB12_59
.LBB12_81:                              ;   in Loop: Header=BB12_14 Depth=1
	s_waitcnt lgkmcnt(3)
	global_store_byte v[4:5], v80, off offset:-192
	s_or_b64 exec, exec, s[30:31]
	v_cmp_gt_u32_e32 vcc, s38, v36
	s_and_saveexec_b64 s[30:31], vcc
	s_cbranch_execz .LBB12_60
.LBB12_82:                              ;   in Loop: Header=BB12_14 Depth=1
	s_waitcnt lgkmcnt(2)
	global_store_byte v[4:5], v79, off offset:-128
	s_or_b64 exec, exec, s[30:31]
	v_cmp_gt_u32_e32 vcc, s38, v37
	s_and_saveexec_b64 s[30:31], vcc
	s_cbranch_execnz .LBB12_61
	s_branch .LBB12_62
.LBB12_83:                              ;   in Loop: Header=BB12_14 Depth=1
	global_load_ubyte v3, v[20:21], off
	v_mov_b32_e32 v5, v2
	v_mov_b32_e32 v6, v2
	;; [unrolled: 1-line block ×3, first 2 shown]
	s_waitcnt vmcnt(0)
	v_and_b32_e32 v4, 0xffff, v3
	s_or_b64 exec, exec, s[36:37]
	v_cmp_gt_u32_e32 vcc, s38, v24
	s_and_saveexec_b64 s[30:31], vcc
	s_cbranch_execz .LBB12_17
.LBB12_84:                              ;   in Loop: Header=BB12_14 Depth=1
	global_load_ubyte v3, v[20:21], off offset:64
	s_waitcnt vmcnt(0)
	v_perm_b32 v4, v4, v3, s39
	s_or_b64 exec, exec, s[30:31]
	v_cmp_gt_u32_e32 vcc, s38, v25
	s_and_saveexec_b64 s[30:31], vcc
	s_cbranch_execz .LBB12_18
.LBB12_85:                              ;   in Loop: Header=BB12_14 Depth=1
	global_load_ubyte v3, v[20:21], off offset:128
	s_waitcnt vmcnt(0)
	v_perm_b32 v4, v4, v3, s40
	s_or_b64 exec, exec, s[30:31]
	v_cmp_gt_u32_e32 vcc, s38, v26
	s_and_saveexec_b64 s[30:31], vcc
	s_cbranch_execz .LBB12_19
.LBB12_86:                              ;   in Loop: Header=BB12_14 Depth=1
	global_load_ubyte v3, v[20:21], off offset:192
	s_waitcnt vmcnt(0)
	v_perm_b32 v4, v4, v3, s41
	s_or_b64 exec, exec, s[30:31]
	v_cmp_gt_u32_e32 vcc, s38, v27
	s_and_saveexec_b64 s[30:31], vcc
	s_cbranch_execz .LBB12_20
.LBB12_87:                              ;   in Loop: Header=BB12_14 Depth=1
	global_load_ubyte v3, v[20:21], off offset:256
	s_waitcnt vmcnt(0)
	v_perm_b32 v5, v3, v5, s42
	s_or_b64 exec, exec, s[30:31]
	v_cmp_gt_u32_e32 vcc, s38, v28
	s_and_saveexec_b64 s[30:31], vcc
	s_cbranch_execz .LBB12_21
.LBB12_88:                              ;   in Loop: Header=BB12_14 Depth=1
	global_load_ubyte v3, v[20:21], off offset:320
	s_waitcnt vmcnt(0)
	v_perm_b32 v5, v5, v3, s39
	s_or_b64 exec, exec, s[30:31]
	v_cmp_gt_u32_e32 vcc, s38, v29
	s_and_saveexec_b64 s[30:31], vcc
	s_cbranch_execz .LBB12_22
.LBB12_89:                              ;   in Loop: Header=BB12_14 Depth=1
	global_load_ubyte v3, v[20:21], off offset:384
	s_waitcnt vmcnt(0)
	v_perm_b32 v5, v5, v3, s40
	s_or_b64 exec, exec, s[30:31]
	v_cmp_gt_u32_e32 vcc, s38, v30
	s_and_saveexec_b64 s[30:31], vcc
	s_cbranch_execz .LBB12_23
.LBB12_90:                              ;   in Loop: Header=BB12_14 Depth=1
	global_load_ubyte v3, v[20:21], off offset:448
	s_waitcnt vmcnt(0)
	v_perm_b32 v5, v5, v3, s41
	s_or_b64 exec, exec, s[30:31]
	v_cmp_gt_u32_e32 vcc, s38, v31
	s_and_saveexec_b64 s[30:31], vcc
	s_cbranch_execz .LBB12_24
.LBB12_91:                              ;   in Loop: Header=BB12_14 Depth=1
	global_load_ubyte v3, v[20:21], off offset:512
	s_waitcnt vmcnt(0)
	v_perm_b32 v6, v3, v6, s42
	s_or_b64 exec, exec, s[30:31]
	v_cmp_gt_u32_e32 vcc, s38, v32
	s_and_saveexec_b64 s[30:31], vcc
	s_cbranch_execz .LBB12_25
.LBB12_92:                              ;   in Loop: Header=BB12_14 Depth=1
	global_load_ubyte v3, v[20:21], off offset:576
	s_waitcnt vmcnt(0)
	v_perm_b32 v6, v6, v3, s39
	s_or_b64 exec, exec, s[30:31]
	v_cmp_gt_u32_e32 vcc, s38, v33
	s_and_saveexec_b64 s[30:31], vcc
	s_cbranch_execz .LBB12_26
.LBB12_93:                              ;   in Loop: Header=BB12_14 Depth=1
	global_load_ubyte v3, v[20:21], off offset:640
	s_waitcnt vmcnt(0)
	v_perm_b32 v6, v6, v3, s40
	s_or_b64 exec, exec, s[30:31]
	v_cmp_gt_u32_e32 vcc, s38, v34
	s_and_saveexec_b64 s[30:31], vcc
	s_cbranch_execz .LBB12_27
.LBB12_94:                              ;   in Loop: Header=BB12_14 Depth=1
	global_load_ubyte v3, v[20:21], off offset:704
	s_waitcnt vmcnt(0)
	v_perm_b32 v6, v6, v3, s41
	s_or_b64 exec, exec, s[30:31]
	v_cmp_gt_u32_e32 vcc, s38, v35
	s_and_saveexec_b64 s[30:31], vcc
	s_cbranch_execz .LBB12_28
.LBB12_95:                              ;   in Loop: Header=BB12_14 Depth=1
	global_load_ubyte v3, v[20:21], off offset:768
	s_waitcnt vmcnt(0)
	v_perm_b32 v7, v3, v7, s42
	s_or_b64 exec, exec, s[30:31]
	v_cmp_gt_u32_e32 vcc, s38, v36
	s_and_saveexec_b64 s[30:31], vcc
	s_cbranch_execz .LBB12_29
.LBB12_96:                              ;   in Loop: Header=BB12_14 Depth=1
	global_load_ubyte v3, v[20:21], off offset:832
	s_waitcnt vmcnt(0)
	v_perm_b32 v7, v7, v3, s39
	s_or_b64 exec, exec, s[30:31]
	v_cmp_gt_u32_e32 vcc, s38, v37
	s_and_saveexec_b64 s[30:31], vcc
	s_cbranch_execz .LBB12_30
.LBB12_97:                              ;   in Loop: Header=BB12_14 Depth=1
	global_load_ubyte v3, v[20:21], off offset:896
	s_waitcnt vmcnt(0)
	v_perm_b32 v7, v7, v3, s40
	s_or_b64 exec, exec, s[30:31]
	v_cmp_gt_u32_e32 vcc, s38, v38
	s_and_saveexec_b64 s[30:31], vcc
	s_cbranch_execnz .LBB12_31
	s_branch .LBB12_32
.LBB12_98:
	s_endpgm
	.section	.rodata,"a",@progbits
	.p2align	6, 0x0
	.amdhsa_kernel _ZN2at4cuda3cub17final_scan_kernelILi512ELi16EaEEvPKT1_PS3_S6_li
		.amdhsa_group_segment_fixed_size 8448
		.amdhsa_private_segment_fixed_size 0
		.amdhsa_kernarg_size 296
		.amdhsa_user_sgpr_count 2
		.amdhsa_user_sgpr_dispatch_ptr 0
		.amdhsa_user_sgpr_queue_ptr 0
		.amdhsa_user_sgpr_kernarg_segment_ptr 1
		.amdhsa_user_sgpr_dispatch_id 0
		.amdhsa_user_sgpr_kernarg_preload_length 0
		.amdhsa_user_sgpr_kernarg_preload_offset 0
		.amdhsa_user_sgpr_private_segment_size 0
		.amdhsa_uses_dynamic_stack 0
		.amdhsa_enable_private_segment 0
		.amdhsa_system_sgpr_workgroup_id_x 1
		.amdhsa_system_sgpr_workgroup_id_y 0
		.amdhsa_system_sgpr_workgroup_id_z 0
		.amdhsa_system_sgpr_workgroup_info 0
		.amdhsa_system_vgpr_workitem_id 0
		.amdhsa_next_free_vgpr 93
		.amdhsa_next_free_sgpr 46
		.amdhsa_accum_offset 96
		.amdhsa_reserve_vcc 1
		.amdhsa_float_round_mode_32 0
		.amdhsa_float_round_mode_16_64 0
		.amdhsa_float_denorm_mode_32 3
		.amdhsa_float_denorm_mode_16_64 3
		.amdhsa_dx10_clamp 1
		.amdhsa_ieee_mode 1
		.amdhsa_fp16_overflow 0
		.amdhsa_tg_split 0
		.amdhsa_exception_fp_ieee_invalid_op 0
		.amdhsa_exception_fp_denorm_src 0
		.amdhsa_exception_fp_ieee_div_zero 0
		.amdhsa_exception_fp_ieee_overflow 0
		.amdhsa_exception_fp_ieee_underflow 0
		.amdhsa_exception_fp_ieee_inexact 0
		.amdhsa_exception_int_div_zero 0
	.end_amdhsa_kernel
	.section	.text._ZN2at4cuda3cub17final_scan_kernelILi512ELi16EaEEvPKT1_PS3_S6_li,"axG",@progbits,_ZN2at4cuda3cub17final_scan_kernelILi512ELi16EaEEvPKT1_PS3_S6_li,comdat
.Lfunc_end12:
	.size	_ZN2at4cuda3cub17final_scan_kernelILi512ELi16EaEEvPKT1_PS3_S6_li, .Lfunc_end12-_ZN2at4cuda3cub17final_scan_kernelILi512ELi16EaEEvPKT1_PS3_S6_li
                                        ; -- End function
	.set _ZN2at4cuda3cub17final_scan_kernelILi512ELi16EaEEvPKT1_PS3_S6_li.num_vgpr, 93
	.set _ZN2at4cuda3cub17final_scan_kernelILi512ELi16EaEEvPKT1_PS3_S6_li.num_agpr, 0
	.set _ZN2at4cuda3cub17final_scan_kernelILi512ELi16EaEEvPKT1_PS3_S6_li.numbered_sgpr, 46
	.set _ZN2at4cuda3cub17final_scan_kernelILi512ELi16EaEEvPKT1_PS3_S6_li.num_named_barrier, 0
	.set _ZN2at4cuda3cub17final_scan_kernelILi512ELi16EaEEvPKT1_PS3_S6_li.private_seg_size, 0
	.set _ZN2at4cuda3cub17final_scan_kernelILi512ELi16EaEEvPKT1_PS3_S6_li.uses_vcc, 1
	.set _ZN2at4cuda3cub17final_scan_kernelILi512ELi16EaEEvPKT1_PS3_S6_li.uses_flat_scratch, 0
	.set _ZN2at4cuda3cub17final_scan_kernelILi512ELi16EaEEvPKT1_PS3_S6_li.has_dyn_sized_stack, 0
	.set _ZN2at4cuda3cub17final_scan_kernelILi512ELi16EaEEvPKT1_PS3_S6_li.has_recursion, 0
	.set _ZN2at4cuda3cub17final_scan_kernelILi512ELi16EaEEvPKT1_PS3_S6_li.has_indirect_call, 0
	.section	.AMDGPU.csdata,"",@progbits
; Kernel info:
; codeLenInByte = 4832
; TotalNumSgprs: 52
; NumVgprs: 93
; NumAgprs: 0
; TotalNumVgprs: 93
; ScratchSize: 0
; MemoryBound: 0
; FloatMode: 240
; IeeeMode: 1
; LDSByteSize: 8448 bytes/workgroup (compile time only)
; SGPRBlocks: 6
; VGPRBlocks: 11
; NumSGPRsForWavesPerEU: 52
; NumVGPRsForWavesPerEU: 93
; AccumOffset: 96
; Occupancy: 5
; WaveLimiterHint : 0
; COMPUTE_PGM_RSRC2:SCRATCH_EN: 0
; COMPUTE_PGM_RSRC2:USER_SGPR: 2
; COMPUTE_PGM_RSRC2:TRAP_HANDLER: 0
; COMPUTE_PGM_RSRC2:TGID_X_EN: 1
; COMPUTE_PGM_RSRC2:TGID_Y_EN: 0
; COMPUTE_PGM_RSRC2:TGID_Z_EN: 0
; COMPUTE_PGM_RSRC2:TIDIG_COMP_CNT: 0
; COMPUTE_PGM_RSRC3_GFX90A:ACCUM_OFFSET: 23
; COMPUTE_PGM_RSRC3_GFX90A:TG_SPLIT: 0
	.section	.text._ZN7rocprim17ROCPRIM_304000_NS6detail31init_lookback_scan_state_kernelINS1_19lookback_scan_stateIaLb1ELb1EEEEEvT_jjPNS5_10value_typeE,"axG",@progbits,_ZN7rocprim17ROCPRIM_304000_NS6detail31init_lookback_scan_state_kernelINS1_19lookback_scan_stateIaLb1ELb1EEEEEvT_jjPNS5_10value_typeE,comdat
	.protected	_ZN7rocprim17ROCPRIM_304000_NS6detail31init_lookback_scan_state_kernelINS1_19lookback_scan_stateIaLb1ELb1EEEEEvT_jjPNS5_10value_typeE ; -- Begin function _ZN7rocprim17ROCPRIM_304000_NS6detail31init_lookback_scan_state_kernelINS1_19lookback_scan_stateIaLb1ELb1EEEEEvT_jjPNS5_10value_typeE
	.globl	_ZN7rocprim17ROCPRIM_304000_NS6detail31init_lookback_scan_state_kernelINS1_19lookback_scan_stateIaLb1ELb1EEEEEvT_jjPNS5_10value_typeE
	.p2align	8
	.type	_ZN7rocprim17ROCPRIM_304000_NS6detail31init_lookback_scan_state_kernelINS1_19lookback_scan_stateIaLb1ELb1EEEEEvT_jjPNS5_10value_typeE,@function
_ZN7rocprim17ROCPRIM_304000_NS6detail31init_lookback_scan_state_kernelINS1_19lookback_scan_stateIaLb1ELb1EEEEEvT_jjPNS5_10value_typeE: ; @_ZN7rocprim17ROCPRIM_304000_NS6detail31init_lookback_scan_state_kernelINS1_19lookback_scan_stateIaLb1ELb1EEEEEvT_jjPNS5_10value_typeE
; %bb.0:
	s_load_dword s3, s[0:1], 0x24
	s_load_dwordx2 s[8:9], s[0:1], 0x10
	s_load_dwordx4 s[4:7], s[0:1], 0x0
	s_waitcnt lgkmcnt(0)
	s_and_b32 s0, s3, 0xffff
	s_mul_i32 s2, s2, s0
	s_cmp_eq_u64 s[8:9], 0
	v_add_u32_e32 v0, s2, v0
	s_cbranch_scc1 .LBB13_8
; %bb.1:
	s_cmp_lt_u32 s7, s6
	s_cselect_b32 s0, s7, 0
	s_mov_b32 s3, 0
	v_cmp_eq_u32_e32 vcc, s0, v0
	s_and_saveexec_b64 s[0:1], vcc
	s_cbranch_execz .LBB13_7
; %bb.2:
	s_add_i32 s2, s7, 64
	s_lshl_b64 s[2:3], s[2:3], 1
	s_add_u32 s2, s4, s2
	s_addc_u32 s3, s5, s3
	v_mov_b32_e32 v1, 0
	global_load_ushort v2, v1, s[2:3] sc1
	s_movk_i32 s7, 0xff
	s_waitcnt vmcnt(0)
	v_cmp_gt_u32_sdwa s[10:11], v2, s7 src0_sel:WORD_0 src1_sel:DWORD
	s_and_b64 vcc, exec, s[10:11]
	s_mov_b32 s10, 1
	s_cbranch_vccnz .LBB13_6
.LBB13_3:                               ; =>This Loop Header: Depth=1
                                        ;     Child Loop BB13_4 Depth 2
	s_mov_b32 s11, s10
.LBB13_4:                               ;   Parent Loop BB13_3 Depth=1
                                        ; =>  This Inner Loop Header: Depth=2
	s_add_i32 s11, s11, -1
	s_cmp_eq_u32 s11, 0
	s_sleep 1
	s_cbranch_scc0 .LBB13_4
; %bb.5:                                ;   in Loop: Header=BB13_3 Depth=1
	global_load_ushort v2, v1, s[2:3] sc1
	s_cmp_lt_u32 s10, 32
	s_cselect_b64 s[12:13], -1, 0
	s_cmp_lg_u64 s[12:13], 0
	s_addc_u32 s10, s10, 0
	s_waitcnt vmcnt(0)
	v_cmp_gt_u32_sdwa s[12:13], v2, s7 src0_sel:WORD_0 src1_sel:DWORD
	s_and_b64 vcc, exec, s[12:13]
	s_cbranch_vccz .LBB13_3
.LBB13_6:
	v_mov_b32_e32 v1, 0
	global_store_byte v1, v2, s[8:9]
.LBB13_7:
	s_or_b64 exec, exec, s[0:1]
.LBB13_8:
	v_cmp_gt_u32_e32 vcc, s6, v0
	s_and_saveexec_b64 s[0:1], vcc
	s_cbranch_execnz .LBB13_11
; %bb.9:
	s_or_b64 exec, exec, s[0:1]
	v_cmp_gt_u32_e32 vcc, 64, v0
	s_and_saveexec_b64 s[0:1], vcc
	s_cbranch_execnz .LBB13_12
.LBB13_10:
	s_endpgm
.LBB13_11:
	v_add_u32_e32 v2, 64, v0
	v_mov_b32_e32 v3, 0
	v_lshl_add_u64 v[4:5], v[2:3], 1, s[4:5]
	global_store_short v[4:5], v3, off
	s_or_b64 exec, exec, s[0:1]
	v_cmp_gt_u32_e32 vcc, 64, v0
	s_and_saveexec_b64 s[0:1], vcc
	s_cbranch_execz .LBB13_10
.LBB13_12:
	v_mov_b32_e32 v1, 0
	v_lshl_add_u64 v[0:1], v[0:1], 1, s[4:5]
	v_mov_b32_e32 v2, 0xffffff00
	global_store_short v[0:1], v2, off
	s_endpgm
	.section	.rodata,"a",@progbits
	.p2align	6, 0x0
	.amdhsa_kernel _ZN7rocprim17ROCPRIM_304000_NS6detail31init_lookback_scan_state_kernelINS1_19lookback_scan_stateIaLb1ELb1EEEEEvT_jjPNS5_10value_typeE
		.amdhsa_group_segment_fixed_size 0
		.amdhsa_private_segment_fixed_size 0
		.amdhsa_kernarg_size 280
		.amdhsa_user_sgpr_count 2
		.amdhsa_user_sgpr_dispatch_ptr 0
		.amdhsa_user_sgpr_queue_ptr 0
		.amdhsa_user_sgpr_kernarg_segment_ptr 1
		.amdhsa_user_sgpr_dispatch_id 0
		.amdhsa_user_sgpr_kernarg_preload_length 0
		.amdhsa_user_sgpr_kernarg_preload_offset 0
		.amdhsa_user_sgpr_private_segment_size 0
		.amdhsa_uses_dynamic_stack 0
		.amdhsa_enable_private_segment 0
		.amdhsa_system_sgpr_workgroup_id_x 1
		.amdhsa_system_sgpr_workgroup_id_y 0
		.amdhsa_system_sgpr_workgroup_id_z 0
		.amdhsa_system_sgpr_workgroup_info 0
		.amdhsa_system_vgpr_workitem_id 0
		.amdhsa_next_free_vgpr 6
		.amdhsa_next_free_sgpr 14
		.amdhsa_accum_offset 8
		.amdhsa_reserve_vcc 1
		.amdhsa_float_round_mode_32 0
		.amdhsa_float_round_mode_16_64 0
		.amdhsa_float_denorm_mode_32 3
		.amdhsa_float_denorm_mode_16_64 3
		.amdhsa_dx10_clamp 1
		.amdhsa_ieee_mode 1
		.amdhsa_fp16_overflow 0
		.amdhsa_tg_split 0
		.amdhsa_exception_fp_ieee_invalid_op 0
		.amdhsa_exception_fp_denorm_src 0
		.amdhsa_exception_fp_ieee_div_zero 0
		.amdhsa_exception_fp_ieee_overflow 0
		.amdhsa_exception_fp_ieee_underflow 0
		.amdhsa_exception_fp_ieee_inexact 0
		.amdhsa_exception_int_div_zero 0
	.end_amdhsa_kernel
	.section	.text._ZN7rocprim17ROCPRIM_304000_NS6detail31init_lookback_scan_state_kernelINS1_19lookback_scan_stateIaLb1ELb1EEEEEvT_jjPNS5_10value_typeE,"axG",@progbits,_ZN7rocprim17ROCPRIM_304000_NS6detail31init_lookback_scan_state_kernelINS1_19lookback_scan_stateIaLb1ELb1EEEEEvT_jjPNS5_10value_typeE,comdat
.Lfunc_end13:
	.size	_ZN7rocprim17ROCPRIM_304000_NS6detail31init_lookback_scan_state_kernelINS1_19lookback_scan_stateIaLb1ELb1EEEEEvT_jjPNS5_10value_typeE, .Lfunc_end13-_ZN7rocprim17ROCPRIM_304000_NS6detail31init_lookback_scan_state_kernelINS1_19lookback_scan_stateIaLb1ELb1EEEEEvT_jjPNS5_10value_typeE
                                        ; -- End function
	.set _ZN7rocprim17ROCPRIM_304000_NS6detail31init_lookback_scan_state_kernelINS1_19lookback_scan_stateIaLb1ELb1EEEEEvT_jjPNS5_10value_typeE.num_vgpr, 6
	.set _ZN7rocprim17ROCPRIM_304000_NS6detail31init_lookback_scan_state_kernelINS1_19lookback_scan_stateIaLb1ELb1EEEEEvT_jjPNS5_10value_typeE.num_agpr, 0
	.set _ZN7rocprim17ROCPRIM_304000_NS6detail31init_lookback_scan_state_kernelINS1_19lookback_scan_stateIaLb1ELb1EEEEEvT_jjPNS5_10value_typeE.numbered_sgpr, 14
	.set _ZN7rocprim17ROCPRIM_304000_NS6detail31init_lookback_scan_state_kernelINS1_19lookback_scan_stateIaLb1ELb1EEEEEvT_jjPNS5_10value_typeE.num_named_barrier, 0
	.set _ZN7rocprim17ROCPRIM_304000_NS6detail31init_lookback_scan_state_kernelINS1_19lookback_scan_stateIaLb1ELb1EEEEEvT_jjPNS5_10value_typeE.private_seg_size, 0
	.set _ZN7rocprim17ROCPRIM_304000_NS6detail31init_lookback_scan_state_kernelINS1_19lookback_scan_stateIaLb1ELb1EEEEEvT_jjPNS5_10value_typeE.uses_vcc, 1
	.set _ZN7rocprim17ROCPRIM_304000_NS6detail31init_lookback_scan_state_kernelINS1_19lookback_scan_stateIaLb1ELb1EEEEEvT_jjPNS5_10value_typeE.uses_flat_scratch, 0
	.set _ZN7rocprim17ROCPRIM_304000_NS6detail31init_lookback_scan_state_kernelINS1_19lookback_scan_stateIaLb1ELb1EEEEEvT_jjPNS5_10value_typeE.has_dyn_sized_stack, 0
	.set _ZN7rocprim17ROCPRIM_304000_NS6detail31init_lookback_scan_state_kernelINS1_19lookback_scan_stateIaLb1ELb1EEEEEvT_jjPNS5_10value_typeE.has_recursion, 0
	.set _ZN7rocprim17ROCPRIM_304000_NS6detail31init_lookback_scan_state_kernelINS1_19lookback_scan_stateIaLb1ELb1EEEEEvT_jjPNS5_10value_typeE.has_indirect_call, 0
	.section	.AMDGPU.csdata,"",@progbits
; Kernel info:
; codeLenInByte = 316
; TotalNumSgprs: 20
; NumVgprs: 6
; NumAgprs: 0
; TotalNumVgprs: 6
; ScratchSize: 0
; MemoryBound: 0
; FloatMode: 240
; IeeeMode: 1
; LDSByteSize: 0 bytes/workgroup (compile time only)
; SGPRBlocks: 2
; VGPRBlocks: 0
; NumSGPRsForWavesPerEU: 20
; NumVGPRsForWavesPerEU: 6
; AccumOffset: 8
; Occupancy: 8
; WaveLimiterHint : 0
; COMPUTE_PGM_RSRC2:SCRATCH_EN: 0
; COMPUTE_PGM_RSRC2:USER_SGPR: 2
; COMPUTE_PGM_RSRC2:TRAP_HANDLER: 0
; COMPUTE_PGM_RSRC2:TGID_X_EN: 1
; COMPUTE_PGM_RSRC2:TGID_Y_EN: 0
; COMPUTE_PGM_RSRC2:TGID_Z_EN: 0
; COMPUTE_PGM_RSRC2:TIDIG_COMP_CNT: 0
; COMPUTE_PGM_RSRC3_GFX90A:ACCUM_OFFSET: 1
; COMPUTE_PGM_RSRC3_GFX90A:TG_SPLIT: 0
	.section	.text._ZN7rocprim17ROCPRIM_304000_NS6detail31init_lookback_scan_state_kernelINS1_19lookback_scan_stateIaLb0ELb1EEEEEvT_jjPNS5_10value_typeE,"axG",@progbits,_ZN7rocprim17ROCPRIM_304000_NS6detail31init_lookback_scan_state_kernelINS1_19lookback_scan_stateIaLb0ELb1EEEEEvT_jjPNS5_10value_typeE,comdat
	.protected	_ZN7rocprim17ROCPRIM_304000_NS6detail31init_lookback_scan_state_kernelINS1_19lookback_scan_stateIaLb0ELb1EEEEEvT_jjPNS5_10value_typeE ; -- Begin function _ZN7rocprim17ROCPRIM_304000_NS6detail31init_lookback_scan_state_kernelINS1_19lookback_scan_stateIaLb0ELb1EEEEEvT_jjPNS5_10value_typeE
	.globl	_ZN7rocprim17ROCPRIM_304000_NS6detail31init_lookback_scan_state_kernelINS1_19lookback_scan_stateIaLb0ELb1EEEEEvT_jjPNS5_10value_typeE
	.p2align	8
	.type	_ZN7rocprim17ROCPRIM_304000_NS6detail31init_lookback_scan_state_kernelINS1_19lookback_scan_stateIaLb0ELb1EEEEEvT_jjPNS5_10value_typeE,@function
_ZN7rocprim17ROCPRIM_304000_NS6detail31init_lookback_scan_state_kernelINS1_19lookback_scan_stateIaLb0ELb1EEEEEvT_jjPNS5_10value_typeE: ; @_ZN7rocprim17ROCPRIM_304000_NS6detail31init_lookback_scan_state_kernelINS1_19lookback_scan_stateIaLb0ELb1EEEEEvT_jjPNS5_10value_typeE
; %bb.0:
	s_load_dword s3, s[0:1], 0x24
	s_load_dwordx2 s[8:9], s[0:1], 0x10
	s_load_dwordx4 s[4:7], s[0:1], 0x0
	s_waitcnt lgkmcnt(0)
	s_and_b32 s0, s3, 0xffff
	s_mul_i32 s2, s2, s0
	s_cmp_eq_u64 s[8:9], 0
	v_add_u32_e32 v0, s2, v0
	s_cbranch_scc1 .LBB14_7
; %bb.1:
	s_cmp_lt_u32 s7, s6
	s_cselect_b32 s0, s7, 0
	s_mov_b32 s3, 0
	v_cmp_eq_u32_e32 vcc, s0, v0
	s_and_saveexec_b64 s[0:1], vcc
	s_cbranch_execz .LBB14_6
; %bb.2:
	s_add_i32 s2, s7, 64
	s_lshl_b64 s[2:3], s[2:3], 1
	s_add_u32 s2, s4, s2
	s_addc_u32 s3, s5, s3
	v_mov_b32_e32 v2, 0
	global_load_ushort v1, v2, s[2:3] sc1
	s_movk_i32 s7, 0xff
	s_waitcnt vmcnt(0)
	v_cmp_gt_u32_sdwa s[10:11], v1, s7 src0_sel:WORD_0 src1_sel:DWORD
	s_and_b64 vcc, exec, s[10:11]
	s_cbranch_vccnz .LBB14_5
; %bb.3:
	s_movk_i32 s7, 0x100
.LBB14_4:                               ; =>This Inner Loop Header: Depth=1
	global_load_ushort v1, v2, s[2:3] sc1
	s_waitcnt vmcnt(0)
	v_cmp_lt_u32_sdwa s[10:11], v1, s7 src0_sel:WORD_0 src1_sel:DWORD
	s_and_b64 vcc, exec, s[10:11]
	s_cbranch_vccnz .LBB14_4
.LBB14_5:
	v_mov_b32_e32 v2, 0
	global_store_byte v2, v1, s[8:9]
.LBB14_6:
	s_or_b64 exec, exec, s[0:1]
.LBB14_7:
	v_cmp_gt_u32_e32 vcc, s6, v0
	s_and_saveexec_b64 s[0:1], vcc
	s_cbranch_execnz .LBB14_10
; %bb.8:
	s_or_b64 exec, exec, s[0:1]
	v_cmp_gt_u32_e32 vcc, 64, v0
	s_and_saveexec_b64 s[0:1], vcc
	s_cbranch_execnz .LBB14_11
.LBB14_9:
	s_endpgm
.LBB14_10:
	v_add_u32_e32 v2, 64, v0
	v_mov_b32_e32 v3, 0
	v_lshl_add_u64 v[4:5], v[2:3], 1, s[4:5]
	global_store_short v[4:5], v3, off
	s_or_b64 exec, exec, s[0:1]
	v_cmp_gt_u32_e32 vcc, 64, v0
	s_and_saveexec_b64 s[0:1], vcc
	s_cbranch_execz .LBB14_9
.LBB14_11:
	v_mov_b32_e32 v1, 0
	v_lshl_add_u64 v[0:1], v[0:1], 1, s[4:5]
	v_mov_b32_e32 v2, 0xffffff00
	global_store_short v[0:1], v2, off
	s_endpgm
	.section	.rodata,"a",@progbits
	.p2align	6, 0x0
	.amdhsa_kernel _ZN7rocprim17ROCPRIM_304000_NS6detail31init_lookback_scan_state_kernelINS1_19lookback_scan_stateIaLb0ELb1EEEEEvT_jjPNS5_10value_typeE
		.amdhsa_group_segment_fixed_size 0
		.amdhsa_private_segment_fixed_size 0
		.amdhsa_kernarg_size 280
		.amdhsa_user_sgpr_count 2
		.amdhsa_user_sgpr_dispatch_ptr 0
		.amdhsa_user_sgpr_queue_ptr 0
		.amdhsa_user_sgpr_kernarg_segment_ptr 1
		.amdhsa_user_sgpr_dispatch_id 0
		.amdhsa_user_sgpr_kernarg_preload_length 0
		.amdhsa_user_sgpr_kernarg_preload_offset 0
		.amdhsa_user_sgpr_private_segment_size 0
		.amdhsa_uses_dynamic_stack 0
		.amdhsa_enable_private_segment 0
		.amdhsa_system_sgpr_workgroup_id_x 1
		.amdhsa_system_sgpr_workgroup_id_y 0
		.amdhsa_system_sgpr_workgroup_id_z 0
		.amdhsa_system_sgpr_workgroup_info 0
		.amdhsa_system_vgpr_workitem_id 0
		.amdhsa_next_free_vgpr 6
		.amdhsa_next_free_sgpr 12
		.amdhsa_accum_offset 8
		.amdhsa_reserve_vcc 1
		.amdhsa_float_round_mode_32 0
		.amdhsa_float_round_mode_16_64 0
		.amdhsa_float_denorm_mode_32 3
		.amdhsa_float_denorm_mode_16_64 3
		.amdhsa_dx10_clamp 1
		.amdhsa_ieee_mode 1
		.amdhsa_fp16_overflow 0
		.amdhsa_tg_split 0
		.amdhsa_exception_fp_ieee_invalid_op 0
		.amdhsa_exception_fp_denorm_src 0
		.amdhsa_exception_fp_ieee_div_zero 0
		.amdhsa_exception_fp_ieee_overflow 0
		.amdhsa_exception_fp_ieee_underflow 0
		.amdhsa_exception_fp_ieee_inexact 0
		.amdhsa_exception_int_div_zero 0
	.end_amdhsa_kernel
	.section	.text._ZN7rocprim17ROCPRIM_304000_NS6detail31init_lookback_scan_state_kernelINS1_19lookback_scan_stateIaLb0ELb1EEEEEvT_jjPNS5_10value_typeE,"axG",@progbits,_ZN7rocprim17ROCPRIM_304000_NS6detail31init_lookback_scan_state_kernelINS1_19lookback_scan_stateIaLb0ELb1EEEEEvT_jjPNS5_10value_typeE,comdat
.Lfunc_end14:
	.size	_ZN7rocprim17ROCPRIM_304000_NS6detail31init_lookback_scan_state_kernelINS1_19lookback_scan_stateIaLb0ELb1EEEEEvT_jjPNS5_10value_typeE, .Lfunc_end14-_ZN7rocprim17ROCPRIM_304000_NS6detail31init_lookback_scan_state_kernelINS1_19lookback_scan_stateIaLb0ELb1EEEEEvT_jjPNS5_10value_typeE
                                        ; -- End function
	.set _ZN7rocprim17ROCPRIM_304000_NS6detail31init_lookback_scan_state_kernelINS1_19lookback_scan_stateIaLb0ELb1EEEEEvT_jjPNS5_10value_typeE.num_vgpr, 6
	.set _ZN7rocprim17ROCPRIM_304000_NS6detail31init_lookback_scan_state_kernelINS1_19lookback_scan_stateIaLb0ELb1EEEEEvT_jjPNS5_10value_typeE.num_agpr, 0
	.set _ZN7rocprim17ROCPRIM_304000_NS6detail31init_lookback_scan_state_kernelINS1_19lookback_scan_stateIaLb0ELb1EEEEEvT_jjPNS5_10value_typeE.numbered_sgpr, 12
	.set _ZN7rocprim17ROCPRIM_304000_NS6detail31init_lookback_scan_state_kernelINS1_19lookback_scan_stateIaLb0ELb1EEEEEvT_jjPNS5_10value_typeE.num_named_barrier, 0
	.set _ZN7rocprim17ROCPRIM_304000_NS6detail31init_lookback_scan_state_kernelINS1_19lookback_scan_stateIaLb0ELb1EEEEEvT_jjPNS5_10value_typeE.private_seg_size, 0
	.set _ZN7rocprim17ROCPRIM_304000_NS6detail31init_lookback_scan_state_kernelINS1_19lookback_scan_stateIaLb0ELb1EEEEEvT_jjPNS5_10value_typeE.uses_vcc, 1
	.set _ZN7rocprim17ROCPRIM_304000_NS6detail31init_lookback_scan_state_kernelINS1_19lookback_scan_stateIaLb0ELb1EEEEEvT_jjPNS5_10value_typeE.uses_flat_scratch, 0
	.set _ZN7rocprim17ROCPRIM_304000_NS6detail31init_lookback_scan_state_kernelINS1_19lookback_scan_stateIaLb0ELb1EEEEEvT_jjPNS5_10value_typeE.has_dyn_sized_stack, 0
	.set _ZN7rocprim17ROCPRIM_304000_NS6detail31init_lookback_scan_state_kernelINS1_19lookback_scan_stateIaLb0ELb1EEEEEvT_jjPNS5_10value_typeE.has_recursion, 0
	.set _ZN7rocprim17ROCPRIM_304000_NS6detail31init_lookback_scan_state_kernelINS1_19lookback_scan_stateIaLb0ELb1EEEEEvT_jjPNS5_10value_typeE.has_indirect_call, 0
	.section	.AMDGPU.csdata,"",@progbits
; Kernel info:
; codeLenInByte = 280
; TotalNumSgprs: 18
; NumVgprs: 6
; NumAgprs: 0
; TotalNumVgprs: 6
; ScratchSize: 0
; MemoryBound: 0
; FloatMode: 240
; IeeeMode: 1
; LDSByteSize: 0 bytes/workgroup (compile time only)
; SGPRBlocks: 2
; VGPRBlocks: 0
; NumSGPRsForWavesPerEU: 18
; NumVGPRsForWavesPerEU: 6
; AccumOffset: 8
; Occupancy: 8
; WaveLimiterHint : 0
; COMPUTE_PGM_RSRC2:SCRATCH_EN: 0
; COMPUTE_PGM_RSRC2:USER_SGPR: 2
; COMPUTE_PGM_RSRC2:TRAP_HANDLER: 0
; COMPUTE_PGM_RSRC2:TGID_X_EN: 1
; COMPUTE_PGM_RSRC2:TGID_Y_EN: 0
; COMPUTE_PGM_RSRC2:TGID_Z_EN: 0
; COMPUTE_PGM_RSRC2:TIDIG_COMP_CNT: 0
; COMPUTE_PGM_RSRC3_GFX90A:ACCUM_OFFSET: 1
; COMPUTE_PGM_RSRC3_GFX90A:TG_SPLIT: 0
	.section	.text._ZN7rocprim17ROCPRIM_304000_NS6detail20lookback_scan_kernelILNS1_25lookback_scan_determinismE0ELb0ENS1_19wrapped_scan_configINS0_14default_configEaEEPKaPaSt4plusIaEaaNS1_19lookback_scan_stateIaLb1ELb1EEEEEvT2_T3_mT5_T4_T7_jPT6_SK_bb,"axG",@progbits,_ZN7rocprim17ROCPRIM_304000_NS6detail20lookback_scan_kernelILNS1_25lookback_scan_determinismE0ELb0ENS1_19wrapped_scan_configINS0_14default_configEaEEPKaPaSt4plusIaEaaNS1_19lookback_scan_stateIaLb1ELb1EEEEEvT2_T3_mT5_T4_T7_jPT6_SK_bb,comdat
	.protected	_ZN7rocprim17ROCPRIM_304000_NS6detail20lookback_scan_kernelILNS1_25lookback_scan_determinismE0ELb0ENS1_19wrapped_scan_configINS0_14default_configEaEEPKaPaSt4plusIaEaaNS1_19lookback_scan_stateIaLb1ELb1EEEEEvT2_T3_mT5_T4_T7_jPT6_SK_bb ; -- Begin function _ZN7rocprim17ROCPRIM_304000_NS6detail20lookback_scan_kernelILNS1_25lookback_scan_determinismE0ELb0ENS1_19wrapped_scan_configINS0_14default_configEaEEPKaPaSt4plusIaEaaNS1_19lookback_scan_stateIaLb1ELb1EEEEEvT2_T3_mT5_T4_T7_jPT6_SK_bb
	.globl	_ZN7rocprim17ROCPRIM_304000_NS6detail20lookback_scan_kernelILNS1_25lookback_scan_determinismE0ELb0ENS1_19wrapped_scan_configINS0_14default_configEaEEPKaPaSt4plusIaEaaNS1_19lookback_scan_stateIaLb1ELb1EEEEEvT2_T3_mT5_T4_T7_jPT6_SK_bb
	.p2align	8
	.type	_ZN7rocprim17ROCPRIM_304000_NS6detail20lookback_scan_kernelILNS1_25lookback_scan_determinismE0ELb0ENS1_19wrapped_scan_configINS0_14default_configEaEEPKaPaSt4plusIaEaaNS1_19lookback_scan_stateIaLb1ELb1EEEEEvT2_T3_mT5_T4_T7_jPT6_SK_bb,@function
_ZN7rocprim17ROCPRIM_304000_NS6detail20lookback_scan_kernelILNS1_25lookback_scan_determinismE0ELb0ENS1_19wrapped_scan_configINS0_14default_configEaEEPKaPaSt4plusIaEaaNS1_19lookback_scan_stateIaLb1ELb1EEEEEvT2_T3_mT5_T4_T7_jPT6_SK_bb: ; @_ZN7rocprim17ROCPRIM_304000_NS6detail20lookback_scan_kernelILNS1_25lookback_scan_determinismE0ELb0ENS1_19wrapped_scan_configINS0_14default_configEaEEPKaPaSt4plusIaEaaNS1_19lookback_scan_stateIaLb1ELb1EEEEEvT2_T3_mT5_T4_T7_jPT6_SK_bb
; %bb.0:
	s_endpgm
	.section	.rodata,"a",@progbits
	.p2align	6, 0x0
	.amdhsa_kernel _ZN7rocprim17ROCPRIM_304000_NS6detail20lookback_scan_kernelILNS1_25lookback_scan_determinismE0ELb0ENS1_19wrapped_scan_configINS0_14default_configEaEEPKaPaSt4plusIaEaaNS1_19lookback_scan_stateIaLb1ELb1EEEEEvT2_T3_mT5_T4_T7_jPT6_SK_bb
		.amdhsa_group_segment_fixed_size 0
		.amdhsa_private_segment_fixed_size 0
		.amdhsa_kernarg_size 68
		.amdhsa_user_sgpr_count 2
		.amdhsa_user_sgpr_dispatch_ptr 0
		.amdhsa_user_sgpr_queue_ptr 0
		.amdhsa_user_sgpr_kernarg_segment_ptr 1
		.amdhsa_user_sgpr_dispatch_id 0
		.amdhsa_user_sgpr_kernarg_preload_length 0
		.amdhsa_user_sgpr_kernarg_preload_offset 0
		.amdhsa_user_sgpr_private_segment_size 0
		.amdhsa_uses_dynamic_stack 0
		.amdhsa_enable_private_segment 0
		.amdhsa_system_sgpr_workgroup_id_x 1
		.amdhsa_system_sgpr_workgroup_id_y 0
		.amdhsa_system_sgpr_workgroup_id_z 0
		.amdhsa_system_sgpr_workgroup_info 0
		.amdhsa_system_vgpr_workitem_id 0
		.amdhsa_next_free_vgpr 1
		.amdhsa_next_free_sgpr 0
		.amdhsa_accum_offset 4
		.amdhsa_reserve_vcc 0
		.amdhsa_float_round_mode_32 0
		.amdhsa_float_round_mode_16_64 0
		.amdhsa_float_denorm_mode_32 3
		.amdhsa_float_denorm_mode_16_64 3
		.amdhsa_dx10_clamp 1
		.amdhsa_ieee_mode 1
		.amdhsa_fp16_overflow 0
		.amdhsa_tg_split 0
		.amdhsa_exception_fp_ieee_invalid_op 0
		.amdhsa_exception_fp_denorm_src 0
		.amdhsa_exception_fp_ieee_div_zero 0
		.amdhsa_exception_fp_ieee_overflow 0
		.amdhsa_exception_fp_ieee_underflow 0
		.amdhsa_exception_fp_ieee_inexact 0
		.amdhsa_exception_int_div_zero 0
	.end_amdhsa_kernel
	.section	.text._ZN7rocprim17ROCPRIM_304000_NS6detail20lookback_scan_kernelILNS1_25lookback_scan_determinismE0ELb0ENS1_19wrapped_scan_configINS0_14default_configEaEEPKaPaSt4plusIaEaaNS1_19lookback_scan_stateIaLb1ELb1EEEEEvT2_T3_mT5_T4_T7_jPT6_SK_bb,"axG",@progbits,_ZN7rocprim17ROCPRIM_304000_NS6detail20lookback_scan_kernelILNS1_25lookback_scan_determinismE0ELb0ENS1_19wrapped_scan_configINS0_14default_configEaEEPKaPaSt4plusIaEaaNS1_19lookback_scan_stateIaLb1ELb1EEEEEvT2_T3_mT5_T4_T7_jPT6_SK_bb,comdat
.Lfunc_end15:
	.size	_ZN7rocprim17ROCPRIM_304000_NS6detail20lookback_scan_kernelILNS1_25lookback_scan_determinismE0ELb0ENS1_19wrapped_scan_configINS0_14default_configEaEEPKaPaSt4plusIaEaaNS1_19lookback_scan_stateIaLb1ELb1EEEEEvT2_T3_mT5_T4_T7_jPT6_SK_bb, .Lfunc_end15-_ZN7rocprim17ROCPRIM_304000_NS6detail20lookback_scan_kernelILNS1_25lookback_scan_determinismE0ELb0ENS1_19wrapped_scan_configINS0_14default_configEaEEPKaPaSt4plusIaEaaNS1_19lookback_scan_stateIaLb1ELb1EEEEEvT2_T3_mT5_T4_T7_jPT6_SK_bb
                                        ; -- End function
	.set _ZN7rocprim17ROCPRIM_304000_NS6detail20lookback_scan_kernelILNS1_25lookback_scan_determinismE0ELb0ENS1_19wrapped_scan_configINS0_14default_configEaEEPKaPaSt4plusIaEaaNS1_19lookback_scan_stateIaLb1ELb1EEEEEvT2_T3_mT5_T4_T7_jPT6_SK_bb.num_vgpr, 0
	.set _ZN7rocprim17ROCPRIM_304000_NS6detail20lookback_scan_kernelILNS1_25lookback_scan_determinismE0ELb0ENS1_19wrapped_scan_configINS0_14default_configEaEEPKaPaSt4plusIaEaaNS1_19lookback_scan_stateIaLb1ELb1EEEEEvT2_T3_mT5_T4_T7_jPT6_SK_bb.num_agpr, 0
	.set _ZN7rocprim17ROCPRIM_304000_NS6detail20lookback_scan_kernelILNS1_25lookback_scan_determinismE0ELb0ENS1_19wrapped_scan_configINS0_14default_configEaEEPKaPaSt4plusIaEaaNS1_19lookback_scan_stateIaLb1ELb1EEEEEvT2_T3_mT5_T4_T7_jPT6_SK_bb.numbered_sgpr, 0
	.set _ZN7rocprim17ROCPRIM_304000_NS6detail20lookback_scan_kernelILNS1_25lookback_scan_determinismE0ELb0ENS1_19wrapped_scan_configINS0_14default_configEaEEPKaPaSt4plusIaEaaNS1_19lookback_scan_stateIaLb1ELb1EEEEEvT2_T3_mT5_T4_T7_jPT6_SK_bb.num_named_barrier, 0
	.set _ZN7rocprim17ROCPRIM_304000_NS6detail20lookback_scan_kernelILNS1_25lookback_scan_determinismE0ELb0ENS1_19wrapped_scan_configINS0_14default_configEaEEPKaPaSt4plusIaEaaNS1_19lookback_scan_stateIaLb1ELb1EEEEEvT2_T3_mT5_T4_T7_jPT6_SK_bb.private_seg_size, 0
	.set _ZN7rocprim17ROCPRIM_304000_NS6detail20lookback_scan_kernelILNS1_25lookback_scan_determinismE0ELb0ENS1_19wrapped_scan_configINS0_14default_configEaEEPKaPaSt4plusIaEaaNS1_19lookback_scan_stateIaLb1ELb1EEEEEvT2_T3_mT5_T4_T7_jPT6_SK_bb.uses_vcc, 0
	.set _ZN7rocprim17ROCPRIM_304000_NS6detail20lookback_scan_kernelILNS1_25lookback_scan_determinismE0ELb0ENS1_19wrapped_scan_configINS0_14default_configEaEEPKaPaSt4plusIaEaaNS1_19lookback_scan_stateIaLb1ELb1EEEEEvT2_T3_mT5_T4_T7_jPT6_SK_bb.uses_flat_scratch, 0
	.set _ZN7rocprim17ROCPRIM_304000_NS6detail20lookback_scan_kernelILNS1_25lookback_scan_determinismE0ELb0ENS1_19wrapped_scan_configINS0_14default_configEaEEPKaPaSt4plusIaEaaNS1_19lookback_scan_stateIaLb1ELb1EEEEEvT2_T3_mT5_T4_T7_jPT6_SK_bb.has_dyn_sized_stack, 0
	.set _ZN7rocprim17ROCPRIM_304000_NS6detail20lookback_scan_kernelILNS1_25lookback_scan_determinismE0ELb0ENS1_19wrapped_scan_configINS0_14default_configEaEEPKaPaSt4plusIaEaaNS1_19lookback_scan_stateIaLb1ELb1EEEEEvT2_T3_mT5_T4_T7_jPT6_SK_bb.has_recursion, 0
	.set _ZN7rocprim17ROCPRIM_304000_NS6detail20lookback_scan_kernelILNS1_25lookback_scan_determinismE0ELb0ENS1_19wrapped_scan_configINS0_14default_configEaEEPKaPaSt4plusIaEaaNS1_19lookback_scan_stateIaLb1ELb1EEEEEvT2_T3_mT5_T4_T7_jPT6_SK_bb.has_indirect_call, 0
	.section	.AMDGPU.csdata,"",@progbits
; Kernel info:
; codeLenInByte = 4
; TotalNumSgprs: 6
; NumVgprs: 0
; NumAgprs: 0
; TotalNumVgprs: 0
; ScratchSize: 0
; MemoryBound: 0
; FloatMode: 240
; IeeeMode: 1
; LDSByteSize: 0 bytes/workgroup (compile time only)
; SGPRBlocks: 0
; VGPRBlocks: 0
; NumSGPRsForWavesPerEU: 6
; NumVGPRsForWavesPerEU: 1
; AccumOffset: 4
; Occupancy: 8
; WaveLimiterHint : 0
; COMPUTE_PGM_RSRC2:SCRATCH_EN: 0
; COMPUTE_PGM_RSRC2:USER_SGPR: 2
; COMPUTE_PGM_RSRC2:TRAP_HANDLER: 0
; COMPUTE_PGM_RSRC2:TGID_X_EN: 1
; COMPUTE_PGM_RSRC2:TGID_Y_EN: 0
; COMPUTE_PGM_RSRC2:TGID_Z_EN: 0
; COMPUTE_PGM_RSRC2:TIDIG_COMP_CNT: 0
; COMPUTE_PGM_RSRC3_GFX90A:ACCUM_OFFSET: 0
; COMPUTE_PGM_RSRC3_GFX90A:TG_SPLIT: 0
	.section	.text._ZN7rocprim17ROCPRIM_304000_NS6detail20lookback_scan_kernelILNS1_25lookback_scan_determinismE0ELb0ENS1_19wrapped_scan_configINS0_14default_configEaEEPKaPaSt4plusIaEaaNS1_19lookback_scan_stateIaLb0ELb1EEEEEvT2_T3_mT5_T4_T7_jPT6_SK_bb,"axG",@progbits,_ZN7rocprim17ROCPRIM_304000_NS6detail20lookback_scan_kernelILNS1_25lookback_scan_determinismE0ELb0ENS1_19wrapped_scan_configINS0_14default_configEaEEPKaPaSt4plusIaEaaNS1_19lookback_scan_stateIaLb0ELb1EEEEEvT2_T3_mT5_T4_T7_jPT6_SK_bb,comdat
	.protected	_ZN7rocprim17ROCPRIM_304000_NS6detail20lookback_scan_kernelILNS1_25lookback_scan_determinismE0ELb0ENS1_19wrapped_scan_configINS0_14default_configEaEEPKaPaSt4plusIaEaaNS1_19lookback_scan_stateIaLb0ELb1EEEEEvT2_T3_mT5_T4_T7_jPT6_SK_bb ; -- Begin function _ZN7rocprim17ROCPRIM_304000_NS6detail20lookback_scan_kernelILNS1_25lookback_scan_determinismE0ELb0ENS1_19wrapped_scan_configINS0_14default_configEaEEPKaPaSt4plusIaEaaNS1_19lookback_scan_stateIaLb0ELb1EEEEEvT2_T3_mT5_T4_T7_jPT6_SK_bb
	.globl	_ZN7rocprim17ROCPRIM_304000_NS6detail20lookback_scan_kernelILNS1_25lookback_scan_determinismE0ELb0ENS1_19wrapped_scan_configINS0_14default_configEaEEPKaPaSt4plusIaEaaNS1_19lookback_scan_stateIaLb0ELb1EEEEEvT2_T3_mT5_T4_T7_jPT6_SK_bb
	.p2align	8
	.type	_ZN7rocprim17ROCPRIM_304000_NS6detail20lookback_scan_kernelILNS1_25lookback_scan_determinismE0ELb0ENS1_19wrapped_scan_configINS0_14default_configEaEEPKaPaSt4plusIaEaaNS1_19lookback_scan_stateIaLb0ELb1EEEEEvT2_T3_mT5_T4_T7_jPT6_SK_bb,@function
_ZN7rocprim17ROCPRIM_304000_NS6detail20lookback_scan_kernelILNS1_25lookback_scan_determinismE0ELb0ENS1_19wrapped_scan_configINS0_14default_configEaEEPKaPaSt4plusIaEaaNS1_19lookback_scan_stateIaLb0ELb1EEEEEvT2_T3_mT5_T4_T7_jPT6_SK_bb: ; @_ZN7rocprim17ROCPRIM_304000_NS6detail20lookback_scan_kernelILNS1_25lookback_scan_determinismE0ELb0ENS1_19wrapped_scan_configINS0_14default_configEaEEPKaPaSt4plusIaEaaNS1_19lookback_scan_stateIaLb0ELb1EEEEEvT2_T3_mT5_T4_T7_jPT6_SK_bb
; %bb.0:
	s_load_dword s3, s[0:1], 0x28
	s_load_dwordx2 s[4:5], s[0:1], 0x10
	s_load_dwordx4 s[12:15], s[0:1], 0x0
	s_mul_i32 s22, s2, 0x1800
	s_waitcnt lgkmcnt(0)
	s_add_i32 s3, s3, -1
	s_mul_i32 s6, s3, 0x1800
	s_sub_u32 s20, s4, s6
	s_subb_u32 s21, s5, 0
	s_cmp_lg_u32 s2, s3
	s_cselect_b64 s[16:17], -1, 0
	s_add_u32 s6, s12, s22
	s_addc_u32 s7, s13, 0
	s_mov_b64 s[4:5], -1
	s_and_b64 vcc, exec, s[16:17]
	s_cbranch_vccz .LBB16_2
; %bb.1:
	v_mov_b32_e32 v1, 0
	v_lshl_add_u64 v[2:3], s[6:7], 0, v[0:1]
	s_movk_i32 s3, 0x1000
	v_add_co_u32_e32 v2, vcc, s3, v2
	global_load_ubyte v1, v0, s[6:7]
	global_load_ubyte v4, v0, s[6:7] offset:256
	global_load_ubyte v5, v0, s[6:7] offset:512
	;; [unrolled: 1-line block ×15, first 2 shown]
	v_addc_co_u32_e32 v3, vcc, 0, v3, vcc
	global_load_ubyte v19, v[2:3], off
	global_load_ubyte v20, v[2:3], off offset:256
	global_load_ubyte v21, v[2:3], off offset:512
	global_load_ubyte v22, v[2:3], off offset:768
	global_load_ubyte v23, v[2:3], off offset:1024
	global_load_ubyte v24, v[2:3], off offset:1280
	global_load_ubyte v25, v[2:3], off offset:1536
	global_load_ubyte v26, v[2:3], off offset:1792
	s_mov_b64 s[4:5], 0
	s_waitcnt vmcnt(23)
	ds_write_b8 v0, v1
	s_waitcnt vmcnt(22)
	ds_write_b8 v0, v4 offset:256
	s_waitcnt vmcnt(21)
	ds_write_b8 v0, v5 offset:512
	;; [unrolled: 2-line block ×23, first 2 shown]
	s_waitcnt lgkmcnt(0)
	s_barrier
.LBB16_2:
	s_andn2_b64 vcc, exec, s[4:5]
	v_cmp_gt_u32_e64 s[4:5], s20, v0
	s_cbranch_vccnz .LBB16_52
; %bb.3:
	v_mov_b32_e32 v1, 0
	global_load_ubyte v10, v1, s[6:7]
	v_lshl_add_u64 v[8:9], s[6:7], 0, v[0:1]
	s_waitcnt vmcnt(0)
	v_readfirstlane_b32 s3, v10
	s_lshl_b32 s8, s3, 8
	s_or_b32 s3, s3, s8
	s_and_b32 s8, s3, 0xffff
	s_lshl_b32 s3, s3, 16
	s_or_b32 s8, s8, s3
	s_mov_b32 s9, s8
	s_mov_b32 s10, s8
	;; [unrolled: 1-line block ×5, first 2 shown]
	v_mov_b64_e32 v[2:3], s[8:9]
	v_mov_b64_e32 v[4:5], s[10:11]
	;; [unrolled: 1-line block ×3, first 2 shown]
	s_and_saveexec_b64 s[6:7], s[4:5]
	s_cbranch_execz .LBB16_5
; %bb.4:
	global_load_ubyte v10, v[8:9], off
	v_mov_b32_e32 v1, 0x3020104
	v_mov_b32_e32 v3, s8
	;; [unrolled: 1-line block ×6, first 2 shown]
	s_waitcnt vmcnt(0)
	v_perm_b32 v2, v10, s8, v1
.LBB16_5:
	s_or_b64 exec, exec, s[6:7]
	v_or_b32_e32 v1, 0x100, v0
	v_cmp_gt_u32_e32 vcc, s20, v1
	s_and_saveexec_b64 s[4:5], vcc
	s_cbranch_execz .LBB16_7
; %bb.6:
	global_load_ubyte v1, v[8:9], off offset:256
	s_mov_b32 s3, 0x7060004
	s_waitcnt vmcnt(0)
	v_perm_b32 v2, v2, v1, s3
.LBB16_7:
	s_or_b64 exec, exec, s[4:5]
	v_or_b32_e32 v1, 0x200, v0
	v_cmp_gt_u32_e32 vcc, s20, v1
	s_and_saveexec_b64 s[4:5], vcc
	s_cbranch_execz .LBB16_9
; %bb.8:
	global_load_ubyte v1, v[8:9], off offset:512
	s_mov_b32 s3, 0x7000504
	s_waitcnt vmcnt(0)
	v_perm_b32 v2, v2, v1, s3
.LBB16_9:
	;; [unrolled: 11-line block ×15, first 2 shown]
	s_or_b64 exec, exec, s[4:5]
	v_or_b32_e32 v1, 0x1000, v0
	v_cmp_gt_u32_e32 vcc, s20, v1
	s_and_saveexec_b64 s[4:5], vcc
	s_cbranch_execz .LBB16_37
; %bb.36:
	v_add_co_u32_e32 v12, vcc, 0x1000, v8
	s_mov_b32 s3, 0x3020104
	s_nop 0
	v_addc_co_u32_e32 v13, vcc, 0, v9, vcc
	global_load_ubyte v1, v[12:13], off
	s_waitcnt vmcnt(0)
	v_perm_b32 v6, v1, v6, s3
.LBB16_37:
	s_or_b64 exec, exec, s[4:5]
	v_or_b32_e32 v1, 0x1100, v0
	v_cmp_gt_u32_e32 vcc, s20, v1
	s_and_saveexec_b64 s[4:5], vcc
	s_cbranch_execz .LBB16_39
; %bb.38:
	v_add_co_u32_e32 v12, vcc, 0x1000, v8
	s_mov_b32 s3, 0x7060004
	s_nop 0
	v_addc_co_u32_e32 v13, vcc, 0, v9, vcc
	global_load_ubyte v1, v[12:13], off offset:256
	s_waitcnt vmcnt(0)
	v_perm_b32 v6, v6, v1, s3
.LBB16_39:
	s_or_b64 exec, exec, s[4:5]
	v_or_b32_e32 v1, 0x1200, v0
	v_cmp_gt_u32_e32 vcc, s20, v1
	s_and_saveexec_b64 s[4:5], vcc
	s_cbranch_execz .LBB16_41
; %bb.40:
	v_add_co_u32_e32 v12, vcc, 0x1000, v8
	s_mov_b32 s3, 0x7000504
	s_nop 0
	v_addc_co_u32_e32 v13, vcc, 0, v9, vcc
	global_load_ubyte v1, v[12:13], off offset:512
	s_waitcnt vmcnt(0)
	v_perm_b32 v6, v6, v1, s3
.LBB16_41:
	;; [unrolled: 14-line block ×7, first 2 shown]
	s_or_b64 exec, exec, s[4:5]
	v_lshrrev_b32_e32 v1, 8, v2
	ds_write_b8 v0, v10
	ds_write_b8 v0, v1 offset:256
	ds_write_b8_d16_hi v0, v2 offset:512
	v_lshrrev_b32_e32 v1, 24, v2
	ds_write_b8 v0, v1 offset:768
	ds_write_b8 v0, v3 offset:1024
	v_lshrrev_b32_e32 v1, 8, v3
	ds_write_b8 v0, v1 offset:1280
	ds_write_b8_d16_hi v0, v3 offset:1536
	v_lshrrev_b32_e32 v1, 24, v3
	ds_write_b8 v0, v1 offset:1792
	ds_write_b8 v0, v4 offset:2048
	v_lshrrev_b32_e32 v1, 8, v4
	;; [unrolled: 6-line block ×5, first 2 shown]
	ds_write_b8 v0, v1 offset:5376
	ds_write_b8_d16_hi v0, v7 offset:5632
	v_lshrrev_b32_e32 v1, 24, v7
	ds_write_b8 v0, v1 offset:5888
	s_waitcnt lgkmcnt(0)
	s_barrier
.LBB16_52:
	v_mul_u32_u24_e32 v14, 24, v0
	s_load_dwordx2 s[12:13], s[0:1], 0x20
	s_waitcnt lgkmcnt(0)
	ds_read2_b64 v[8:11], v14 offset1:1
	ds_read_b64 v[12:13], v14 offset:16
	s_cmp_lg_u32 s2, 0
	v_mbcnt_lo_u32_b32 v16, -1, 0
	v_lshrrev_b32_e32 v1, 6, v0
	v_or_b32_e32 v15, 63, v0
	s_waitcnt lgkmcnt(0)
	s_barrier
	s_cbranch_scc0 .LBB16_74
; %bb.53:
	v_lshrrev_b32_e32 v17, 8, v8
	v_add_u16_e32 v2, v17, v8
	v_add_u16_sdwa v2, v2, v8 dst_sel:DWORD dst_unused:UNUSED_PAD src0_sel:DWORD src1_sel:WORD_1
	v_add_u16_sdwa v2, v2, v8 dst_sel:DWORD dst_unused:UNUSED_PAD src0_sel:DWORD src1_sel:BYTE_3
	v_add_u16_e32 v2, v2, v9
	v_lshrrev_b32_e32 v18, 8, v9
	v_add_u16_e32 v2, v2, v18
	v_add_u16_sdwa v2, v2, v9 dst_sel:DWORD dst_unused:UNUSED_PAD src0_sel:DWORD src1_sel:WORD_1
	v_add_u16_sdwa v2, v2, v9 dst_sel:DWORD dst_unused:UNUSED_PAD src0_sel:DWORD src1_sel:BYTE_3
	v_add_u16_e32 v2, v2, v10
	;; [unrolled: 5-line block ×5, first 2 shown]
	v_lshrrev_b32_e32 v22, 8, v13
	v_add_u16_e32 v2, v2, v22
	v_add_u16_sdwa v2, v2, v13 dst_sel:DWORD dst_unused:UNUSED_PAD src0_sel:DWORD src1_sel:WORD_1
	v_add_u16_sdwa v2, v2, v13 dst_sel:DWORD dst_unused:UNUSED_PAD src0_sel:DWORD src1_sel:BYTE_3
	v_mbcnt_hi_u32_b32 v3, -1, v16
	v_and_b32_e32 v4, 15, v3
	v_and_b32_e32 v5, 0xff, v2
	v_cmp_ne_u32_e32 vcc, 0, v4
	s_nop 0
	v_mov_b32_dpp v5, v5 row_shr:1 row_mask:0xf bank_mask:0xf
	v_cndmask_b32_e32 v5, 0, v5, vcc
	v_add_u16_e32 v2, v5, v2
	v_and_b32_e32 v5, 0xff, v2
	v_cmp_lt_u32_e32 vcc, 1, v4
	s_nop 0
	v_mov_b32_dpp v5, v5 row_shr:2 row_mask:0xf bank_mask:0xf
	v_cndmask_b32_e32 v5, 0, v5, vcc
	v_add_u16_e32 v2, v2, v5
	v_and_b32_e32 v5, 0xff, v2
	v_cmp_lt_u32_e32 vcc, 3, v4
	;; [unrolled: 6-line block ×3, first 2 shown]
	s_nop 0
	v_mov_b32_dpp v5, v5 row_shr:8 row_mask:0xf bank_mask:0xf
	v_cndmask_b32_e32 v4, 0, v5, vcc
	v_add_u16_e32 v2, v2, v4
	v_and_b32_e32 v4, 0xff, v2
	v_and_b32_e32 v5, 16, v3
	v_cmp_ne_u32_e32 vcc, 0, v5
	v_mov_b32_dpp v4, v4 row_bcast:15 row_mask:0xf bank_mask:0xf
	s_nop 0
	v_cndmask_b32_e32 v4, 0, v4, vcc
	v_add_u16_e32 v2, v2, v4
	v_and_b32_e32 v4, 0xff, v2
	v_cmp_lt_u32_e32 vcc, 31, v3
	s_nop 0
	v_mov_b32_dpp v4, v4 row_bcast:31 row_mask:0xf bank_mask:0xf
	v_cndmask_b32_e32 v4, 0, v4, vcc
	v_add_u16_e32 v2, v2, v4
	v_cmp_eq_u32_e32 vcc, v0, v15
	s_and_saveexec_b64 s[4:5], vcc
; %bb.54:
	ds_write_b8 v1, v2
; %bb.55:
	s_or_b64 exec, exec, s[4:5]
	v_cmp_gt_u32_e32 vcc, 4, v0
	s_waitcnt lgkmcnt(0)
	s_barrier
	s_and_saveexec_b64 s[4:5], vcc
	s_cbranch_execz .LBB16_57
; %bb.56:
	ds_read_u8 v4, v0
	v_and_b32_e32 v5, 3, v3
	v_cmp_ne_u32_e32 vcc, 0, v5
	s_waitcnt lgkmcnt(0)
	v_and_b32_e32 v6, 0xff, v4
	s_nop 1
	v_mov_b32_dpp v6, v6 row_shr:1 row_mask:0xf bank_mask:0xf
	v_cndmask_b32_e32 v6, 0, v6, vcc
	v_add_u16_e32 v4, v6, v4
	v_and_b32_e32 v6, 0xff, v4
	v_cmp_lt_u32_e32 vcc, 1, v5
	s_nop 0
	v_mov_b32_dpp v6, v6 row_shr:2 row_mask:0xf bank_mask:0xf
	v_cndmask_b32_e32 v5, 0, v6, vcc
	v_add_u16_e32 v4, v4, v5
	ds_write_b8 v0, v4
.LBB16_57:
	s_or_b64 exec, exec, s[4:5]
	v_cmp_gt_u32_e32 vcc, 64, v0
	v_cmp_lt_u32_e64 s[4:5], 63, v0
	s_waitcnt lgkmcnt(0)
	s_barrier
                                        ; implicit-def: $vgpr23
	s_and_saveexec_b64 s[6:7], s[4:5]
	s_cbranch_execz .LBB16_59
; %bb.58:
	v_add_u32_e32 v4, -1, v1
	ds_read_u8 v23, v4
	s_waitcnt lgkmcnt(0)
	v_add_u16_e32 v2, v23, v2
.LBB16_59:
	s_or_b64 exec, exec, s[6:7]
	v_subrev_co_u32_e64 v4, s[4:5], 1, v3
	v_and_b32_e32 v5, 64, v3
	v_cmp_lt_i32_e64 s[6:7], v4, v5
	v_and_b32_e32 v2, 0xff, v2
	s_nop 0
	v_cndmask_b32_e64 v4, v4, v3, s[6:7]
	v_lshlrev_b32_e32 v4, 2, v4
	ds_bpermute_b32 v24, v4, v2
	s_and_saveexec_b64 s[18:19], vcc
	s_cbranch_execz .LBB16_79
; %bb.60:
	v_mov_b32_e32 v5, 0
	ds_read_u8 v25, v5 offset:3
	s_and_saveexec_b64 s[6:7], s[4:5]
	s_cbranch_execz .LBB16_62
; %bb.61:
	s_add_i32 s8, s2, 64
	s_mov_b32 s9, 0
	s_lshl_b64 s[8:9], s[8:9], 1
	s_movk_i32 s3, 0x100
	s_add_u32 s8, s12, s8
	s_waitcnt lgkmcnt(0)
	v_or_b32_sdwa v2, v25, s3 dst_sel:DWORD dst_unused:UNUSED_PAD src0_sel:BYTE_0 src1_sel:DWORD
	s_addc_u32 s9, s13, s9
	global_store_short v5, v2, s[8:9] sc1
.LBB16_62:
	s_or_b64 exec, exec, s[6:7]
	v_xad_u32 v2, v3, -1, s2
	v_add_u32_e32 v4, 64, v2
	v_lshl_add_u64 v[4:5], v[4:5], 1, s[12:13]
	global_load_ushort v6, v[4:5], off sc1
	s_waitcnt vmcnt(0)
	v_lshrrev_b16_e32 v26, 8, v6
	v_cmp_eq_u16_e32 vcc, 0, v26
	s_and_saveexec_b64 s[6:7], vcc
	s_cbranch_execz .LBB16_66
; %bb.63:
	s_mov_b64 s[8:9], 0
	v_mov_b32_e32 v7, 0
.LBB16_64:                              ; =>This Inner Loop Header: Depth=1
	global_load_ushort v6, v[4:5], off sc1
	s_waitcnt vmcnt(0)
	v_cmp_ne_u16_sdwa s[10:11], v6, v7 src0_sel:BYTE_1 src1_sel:DWORD
	s_or_b64 s[8:9], s[10:11], s[8:9]
	v_lshrrev_b16_e32 v26, 8, v6
	s_andn2_b64 exec, exec, s[8:9]
	s_cbranch_execnz .LBB16_64
; %bb.65:
	s_or_b64 exec, exec, s[8:9]
.LBB16_66:
	s_or_b64 exec, exec, s[6:7]
	v_cmp_eq_u16_e32 vcc, 2, v26
	v_lshlrev_b64 v[4:5], v3, -1
	v_and_b32_e32 v35, 63, v3
	v_and_b32_e32 v7, vcc_hi, v5
	v_and_b32_e32 v28, vcc_lo, v4
	v_cmp_ne_u32_e32 vcc, 63, v35
	v_and_b32_e32 v29, 0xff, v6
	v_or_b32_e32 v7, 0x80000000, v7
	v_addc_co_u32_e32 v27, vcc, 0, v3, vcc
	v_lshlrev_b32_e32 v27, 2, v27
	ds_bpermute_b32 v30, v27, v29
	v_ffbl_b32_e32 v7, v7
	v_add_u32_e32 v7, 32, v7
	v_ffbl_b32_e32 v28, v28
	v_min_u32_e32 v7, v28, v7
	v_add_u32_e32 v28, 1, v3
	s_waitcnt lgkmcnt(0)
	v_add_u16_e32 v30, v6, v30
	v_and_b32_e32 v31, 0xff, v30
	v_cmp_le_u32_e32 vcc, v28, v7
	v_cmp_gt_u32_e64 s[6:7], 62, v35
	v_cmp_gt_u32_e64 s[8:9], 60, v35
	v_cndmask_b32_e32 v31, v29, v31, vcc
	v_cndmask_b32_e64 v29, 0, 2, s[6:7]
	v_add_lshl_u32 v29, v29, v3, 2
	ds_bpermute_b32 v32, v29, v31
	v_cndmask_b32_e32 v33, v6, v30, vcc
	v_add_u32_e32 v30, 2, v3
	v_cmp_le_u32_e64 s[6:7], v30, v7
	v_cmp_gt_u32_e64 s[10:11], 56, v35
	s_waitcnt lgkmcnt(0)
	v_add_u16_e32 v32, v33, v32
	v_and_b32_e32 v34, 0xff, v32
	v_cndmask_b32_e64 v34, v31, v34, s[6:7]
	v_cndmask_b32_e64 v31, 0, 4, s[8:9]
	v_add_lshl_u32 v31, v31, v3, 2
	ds_bpermute_b32 v36, v31, v34
	v_cndmask_b32_e64 v37, v33, v32, s[6:7]
	v_add_u32_e32 v32, 4, v3
	v_cmp_le_u32_e64 s[8:9], v32, v7
	s_waitcnt lgkmcnt(0)
	v_add_u16_e32 v36, v37, v36
	v_and_b32_e32 v33, 0xff, v36
	v_cndmask_b32_e64 v38, v34, v33, s[8:9]
	v_cndmask_b32_e64 v33, 0, 8, s[10:11]
	v_add_lshl_u32 v33, v33, v3, 2
	ds_bpermute_b32 v39, v33, v38
	v_cndmask_b32_e64 v37, v37, v36, s[8:9]
	s_or_b64 s[10:11], vcc, s[6:7]
	v_add_u32_e32 v34, 8, v3
	v_cmp_gt_u32_e64 s[6:7], 48, v35
	s_waitcnt lgkmcnt(0)
	v_add_u16_e32 v39, v37, v39
	v_and_b32_e32 v36, 0xff, v39
	v_cmp_le_u32_e32 vcc, v34, v7
	v_cndmask_b32_e64 v35, 0, 16, s[6:7]
	s_or_b64 s[6:7], s[8:9], s[10:11]
	v_cndmask_b32_e32 v38, v38, v36, vcc
	v_add_lshl_u32 v36, v35, v3, 2
	ds_bpermute_b32 v35, v36, v38
	v_cndmask_b32_e32 v40, v37, v39, vcc
	v_add_u32_e32 v37, 16, v3
	s_or_b64 s[6:7], vcc, s[6:7]
	v_cmp_le_u32_e32 vcc, v37, v7
	s_waitcnt lgkmcnt(0)
	v_add_u16_e32 v35, v40, v35
	v_and_b32_e32 v39, 0xff, v35
	v_cndmask_b32_e32 v39, v38, v39, vcc
	v_mov_b32_e32 v38, 0x80
	v_lshl_or_b32 v38, v3, 2, v38
	ds_bpermute_b32 v41, v38, v39
	v_add_u32_e32 v39, 32, v3
	s_or_b64 s[6:7], vcc, s[6:7]
	v_cndmask_b32_e32 v3, v40, v35, vcc
	v_cmp_le_u32_e32 vcc, v39, v7
	v_mov_b32_e32 v40, 2
	s_waitcnt lgkmcnt(0)
	v_cndmask_b32_e32 v7, 0, v41, vcc
	v_add_u16_e32 v3, v3, v7
	s_or_b64 vcc, vcc, s[6:7]
	v_cndmask_b32_e32 v6, v6, v3, vcc
	v_mov_b32_e32 v3, 0
	s_branch .LBB16_70
.LBB16_67:                              ;   in Loop: Header=BB16_70 Depth=1
	s_or_b64 exec, exec, s[8:9]
.LBB16_68:                              ;   in Loop: Header=BB16_70 Depth=1
	s_or_b64 exec, exec, s[6:7]
	v_and_b32_e32 v42, 0xff, v41
	v_cmp_eq_u16_e32 vcc, 2, v26
	ds_bpermute_b32 v43, v27, v42
	v_subrev_u32_e32 v2, 64, v2
	v_and_b32_e32 v6, vcc_hi, v5
	v_or_b32_e32 v6, 0x80000000, v6
	v_and_b32_e32 v7, vcc_lo, v4
	v_ffbl_b32_e32 v6, v6
	v_add_u32_e32 v6, 32, v6
	v_ffbl_b32_e32 v7, v7
	v_min_u32_e32 v6, v7, v6
	s_waitcnt lgkmcnt(0)
	v_add_u16_e32 v7, v41, v43
	v_and_b32_e32 v43, 0xff, v7
	v_cmp_le_u32_e32 vcc, v28, v6
	v_cmp_le_u32_e64 s[6:7], v30, v6
	v_cmp_le_u32_e64 s[8:9], v32, v6
	v_cndmask_b32_e32 v42, v42, v43, vcc
	ds_bpermute_b32 v43, v29, v42
	v_cndmask_b32_e32 v7, v41, v7, vcc
	v_cmp_le_u32_e64 s[10:11], v34, v6
	s_waitcnt lgkmcnt(0)
	v_add_u16_e32 v43, v7, v43
	v_and_b32_e32 v44, 0xff, v43
	v_cndmask_b32_e64 v42, v42, v44, s[6:7]
	ds_bpermute_b32 v44, v31, v42
	v_cndmask_b32_e64 v7, v7, v43, s[6:7]
	s_or_b64 s[6:7], vcc, s[6:7]
	v_cmp_le_u32_e32 vcc, v37, v6
	s_or_b64 s[6:7], s[8:9], s[6:7]
	s_waitcnt lgkmcnt(0)
	v_add_u16_e32 v43, v7, v44
	v_and_b32_e32 v44, 0xff, v43
	v_cndmask_b32_e64 v42, v42, v44, s[8:9]
	ds_bpermute_b32 v44, v33, v42
	v_cndmask_b32_e64 v7, v7, v43, s[8:9]
	s_or_b64 s[6:7], s[10:11], s[6:7]
	s_or_b64 s[6:7], vcc, s[6:7]
	s_waitcnt lgkmcnt(0)
	v_add_u16_e32 v43, v7, v44
	v_and_b32_e32 v44, 0xff, v43
	v_cndmask_b32_e64 v42, v42, v44, s[10:11]
	ds_bpermute_b32 v44, v36, v42
	v_cndmask_b32_e64 v7, v7, v43, s[10:11]
	s_waitcnt lgkmcnt(0)
	v_add_u16_e32 v43, v7, v44
	v_and_b32_e32 v44, 0xff, v43
	v_cndmask_b32_e32 v42, v42, v44, vcc
	ds_bpermute_b32 v42, v38, v42
	v_cndmask_b32_e32 v7, v7, v43, vcc
	v_cmp_le_u32_e32 vcc, v39, v6
	s_waitcnt lgkmcnt(0)
	s_nop 0
	v_cndmask_b32_e32 v6, 0, v42, vcc
	v_add_u16_e32 v6, v7, v6
	s_or_b64 vcc, vcc, s[6:7]
	v_cndmask_b32_e32 v6, v41, v6, vcc
	v_add_u16_e32 v6, v6, v35
	s_mov_b64 s[6:7], 0
.LBB16_69:                              ;   in Loop: Header=BB16_70 Depth=1
	s_and_b64 vcc, exec, s[6:7]
	s_cbranch_vccnz .LBB16_75
.LBB16_70:                              ; =>This Loop Header: Depth=1
                                        ;     Child Loop BB16_73 Depth 2
	v_cmp_ne_u16_sdwa s[6:7], v26, v40 src0_sel:BYTE_0 src1_sel:DWORD
	v_mov_b32_e32 v35, v6
	s_cmp_lg_u64 s[6:7], exec
	s_mov_b64 s[6:7], -1
                                        ; implicit-def: $vgpr6
                                        ; implicit-def: $vgpr26
	s_cbranch_scc1 .LBB16_69
; %bb.71:                               ;   in Loop: Header=BB16_70 Depth=1
	v_lshl_add_u64 v[6:7], v[2:3], 1, s[12:13]
	global_load_ushort v41, v[6:7], off sc1
	s_waitcnt vmcnt(0)
	v_lshrrev_b16_e32 v26, 8, v41
	v_cmp_eq_u16_e32 vcc, 0, v26
	s_and_saveexec_b64 s[6:7], vcc
	s_cbranch_execz .LBB16_68
; %bb.72:                               ;   in Loop: Header=BB16_70 Depth=1
	s_mov_b64 s[8:9], 0
.LBB16_73:                              ;   Parent Loop BB16_70 Depth=1
                                        ; =>  This Inner Loop Header: Depth=2
	global_load_ushort v41, v[6:7], off sc1
	s_waitcnt vmcnt(0)
	v_lshrrev_b16_e32 v26, 8, v41
	v_cmp_ne_u16_e32 vcc, 0, v26
	s_or_b64 s[8:9], vcc, s[8:9]
	s_andn2_b64 exec, exec, s[8:9]
	s_cbranch_execnz .LBB16_73
	s_branch .LBB16_67
.LBB16_74:
                                        ; implicit-def: $vgpr2_vgpr3_vgpr4_vgpr5_vgpr6_vgpr7
	s_load_dwordx4 s[4:7], s[0:1], 0x30
	s_cbranch_execnz .LBB16_80
	s_branch .LBB16_91
.LBB16_75:
	s_and_saveexec_b64 s[6:7], s[4:5]
	s_cbranch_execz .LBB16_77
; %bb.76:
	v_add_u16_e32 v2, v35, v25
	s_movk_i32 s3, 0x200
	v_mov_b32_e32 v3, 0xff
	v_bitop3_b16 v2, v2, s3, v3 bitop3:0xec
	s_add_i32 s2, s2, 64
	s_mov_b32 s3, 0
	s_lshl_b64 s[2:3], s[2:3], 1
	s_add_u32 s2, s12, s2
	s_addc_u32 s3, s13, s3
	v_mov_b32_e32 v3, 0
	global_store_short v3, v2, s[2:3] sc1
.LBB16_77:
	s_or_b64 exec, exec, s[6:7]
	v_cmp_eq_u32_e32 vcc, 0, v0
	s_and_b64 exec, exec, vcc
; %bb.78:
	v_mov_b32_e32 v2, 0
	ds_write_b8 v2, v35 offset:3
.LBB16_79:
	s_or_b64 exec, exec, s[18:19]
	v_mov_b32_e32 v2, 0
	s_waitcnt lgkmcnt(0)
	s_barrier
	ds_read_u8 v2, v2 offset:3
	v_cndmask_b32_e64 v3, v24, v23, s[4:5]
	v_cmp_ne_u32_e32 vcc, 0, v0
	s_movk_i32 s2, 0xff
	s_nop 0
	v_cndmask_b32_e32 v3, 0, v3, vcc
	v_add_u16_e32 v3, v3, v8
	s_waitcnt lgkmcnt(0)
	v_add_u16_e32 v2, v3, v2
	v_add_u16_e32 v3, v2, v17
	v_add_u16_sdwa v4, v3, v8 dst_sel:DWORD dst_unused:UNUSED_PAD src0_sel:DWORD src1_sel:WORD_1
	v_add_u16_sdwa v5, v4, v8 dst_sel:DWORD dst_unused:UNUSED_PAD src0_sel:DWORD src1_sel:BYTE_3
	v_add_u16_e32 v6, v5, v9
	v_add_u16_e32 v7, v6, v18
	v_add_u16_sdwa v17, v7, v9 dst_sel:DWORD dst_unused:UNUSED_PAD src0_sel:DWORD src1_sel:WORD_1
	v_add_u16_sdwa v18, v17, v9 dst_sel:DWORD dst_unused:UNUSED_PAD src0_sel:DWORD src1_sel:BYTE_3
	;; [unrolled: 4-line block ×3, first 2 shown]
	v_add_u16_e32 v26, v25, v11
	v_lshlrev_b16_e32 v3, 8, v3
	v_add_u16_e32 v20, v26, v20
	v_bitop3_b16 v2, v2, v3, s2 bitop3:0xec
	v_lshlrev_b16_e32 v3, 8, v5
	v_add_u16_sdwa v27, v20, v11 dst_sel:DWORD dst_unused:UNUSED_PAD src0_sel:DWORD src1_sel:WORD_1
	v_bitop3_b16 v3, v4, v3, s2 bitop3:0xec
	v_add_u16_sdwa v28, v27, v11 dst_sel:DWORD dst_unused:UNUSED_PAD src0_sel:DWORD src1_sel:BYTE_3
	v_lshlrev_b32_e32 v3, 16, v3
	v_lshlrev_b16_e32 v4, 8, v18
	v_add_u16_e32 v29, v28, v12
	v_or_b32_sdwa v2, v2, v3 dst_sel:DWORD dst_unused:UNUSED_PAD src0_sel:WORD_0 src1_sel:DWORD
	v_lshlrev_b16_e32 v3, 8, v7
	v_bitop3_b16 v4, v17, v4, s2 bitop3:0xec
	v_add_u16_e32 v21, v29, v21
	v_bitop3_b16 v3, v6, v3, s2 bitop3:0xec
	v_lshlrev_b32_e32 v4, 16, v4
	v_lshlrev_b16_e32 v5, 8, v25
	v_add_u16_sdwa v30, v21, v12 dst_sel:DWORD dst_unused:UNUSED_PAD src0_sel:DWORD src1_sel:WORD_1
	v_or_b32_sdwa v3, v3, v4 dst_sel:DWORD dst_unused:UNUSED_PAD src0_sel:WORD_0 src1_sel:DWORD
	v_lshlrev_b16_e32 v4, 8, v19
	v_bitop3_b16 v5, v24, v5, s2 bitop3:0xec
	v_add_u16_sdwa v31, v30, v12 dst_sel:DWORD dst_unused:UNUSED_PAD src0_sel:DWORD src1_sel:BYTE_3
	v_bitop3_b16 v4, v23, v4, s2 bitop3:0xec
	v_lshlrev_b32_e32 v5, 16, v5
	v_lshlrev_b16_e32 v6, 8, v28
	v_add_u16_e32 v32, v31, v13
	v_or_b32_sdwa v4, v4, v5 dst_sel:DWORD dst_unused:UNUSED_PAD src0_sel:WORD_0 src1_sel:DWORD
	v_lshlrev_b16_e32 v5, 8, v20
	v_bitop3_b16 v6, v27, v6, s2 bitop3:0xec
	v_add_u16_e32 v22, v32, v22
	v_bitop3_b16 v5, v26, v5, s2 bitop3:0xec
	v_lshlrev_b32_e32 v6, 16, v6
	v_lshlrev_b16_e32 v7, 8, v31
	v_add_u16_sdwa v33, v22, v13 dst_sel:DWORD dst_unused:UNUSED_PAD src0_sel:DWORD src1_sel:WORD_1
	v_or_b32_sdwa v5, v5, v6 dst_sel:DWORD dst_unused:UNUSED_PAD src0_sel:WORD_0 src1_sel:DWORD
	v_lshlrev_b16_e32 v6, 8, v21
	v_bitop3_b16 v7, v30, v7, s2 bitop3:0xec
	v_add_u16_sdwa v34, v33, v13 dst_sel:BYTE_1 dst_unused:UNUSED_PAD src0_sel:DWORD src1_sel:BYTE_3
	v_bitop3_b16 v6, v29, v6, s2 bitop3:0xec
	v_lshlrev_b32_e32 v7, 16, v7
	v_or_b32_sdwa v6, v6, v7 dst_sel:DWORD dst_unused:UNUSED_PAD src0_sel:WORD_0 src1_sel:DWORD
	v_lshlrev_b16_e32 v7, 8, v22
	v_bitop3_b16 v17, v33, v34, s2 bitop3:0xec
	v_bitop3_b16 v7, v32, v7, s2 bitop3:0xec
	v_lshlrev_b32_e32 v17, 16, v17
	v_or_b32_sdwa v7, v7, v17 dst_sel:DWORD dst_unused:UNUSED_PAD src0_sel:WORD_0 src1_sel:DWORD
	s_load_dwordx4 s[4:7], s[0:1], 0x30
	s_branch .LBB16_91
.LBB16_80:
	s_load_dword s2, s[0:1], 0x40
	v_cmp_eq_u32_e32 vcc, 0, v0
	s_waitcnt lgkmcnt(0)
	s_bitcmp1_b32 s2, 0
	s_cselect_b64 s[2:3], -1, 0
	s_and_b64 s[8:9], vcc, s[2:3]
	s_and_saveexec_b64 s[2:3], s[8:9]
	s_cbranch_execz .LBB16_82
; %bb.81:
	v_mov_b32_e32 v2, 0
	global_load_ubyte v2, v2, s[4:5]
	s_mov_b32 s4, 0x3020104
	s_waitcnt vmcnt(0)
	v_add_u16_e32 v2, v2, v8
	v_perm_b32 v8, v2, v8, s4
.LBB16_82:
	s_or_b64 exec, exec, s[2:3]
	v_lshrrev_b32_e32 v5, 8, v8
	v_add_u16_e32 v6, v5, v8
	v_add_u16_sdwa v6, v6, v8 dst_sel:DWORD dst_unused:UNUSED_PAD src0_sel:DWORD src1_sel:WORD_1
	v_add_u16_sdwa v6, v6, v8 dst_sel:DWORD dst_unused:UNUSED_PAD src0_sel:DWORD src1_sel:BYTE_3
	v_lshrrev_b32_e32 v4, 8, v9
	v_add_u16_e32 v6, v6, v9
	v_add_u16_e32 v6, v6, v4
	v_add_u16_sdwa v6, v6, v9 dst_sel:DWORD dst_unused:UNUSED_PAD src0_sel:DWORD src1_sel:WORD_1
	v_add_u16_sdwa v6, v6, v9 dst_sel:DWORD dst_unused:UNUSED_PAD src0_sel:DWORD src1_sel:BYTE_3
	v_add_u16_e32 v7, v6, v10
	v_lshrrev_b32_e32 v6, 8, v10
	v_add_u16_e32 v7, v7, v6
	v_add_u16_sdwa v7, v7, v10 dst_sel:DWORD dst_unused:UNUSED_PAD src0_sel:DWORD src1_sel:WORD_1
	v_add_u16_sdwa v7, v7, v10 dst_sel:DWORD dst_unused:UNUSED_PAD src0_sel:DWORD src1_sel:BYTE_3
	v_lshrrev_b32_e32 v3, 8, v11
	v_add_u16_e32 v7, v7, v11
	v_add_u16_e32 v7, v7, v3
	v_add_u16_sdwa v7, v7, v11 dst_sel:DWORD dst_unused:UNUSED_PAD src0_sel:DWORD src1_sel:WORD_1
	v_add_u16_sdwa v7, v7, v11 dst_sel:DWORD dst_unused:UNUSED_PAD src0_sel:DWORD src1_sel:BYTE_3
	v_add_u16_e32 v17, v7, v12
	v_lshrrev_b32_e32 v7, 8, v12
	v_add_u16_e32 v17, v17, v7
	v_add_u16_sdwa v17, v17, v12 dst_sel:DWORD dst_unused:UNUSED_PAD src0_sel:DWORD src1_sel:WORD_1
	v_add_u16_sdwa v17, v17, v12 dst_sel:DWORD dst_unused:UNUSED_PAD src0_sel:DWORD src1_sel:BYTE_3
	v_lshrrev_b32_e32 v2, 8, v13
	v_add_u16_e32 v17, v17, v13
	v_add_u16_e32 v17, v17, v2
	v_add_u16_sdwa v17, v17, v13 dst_sel:DWORD dst_unused:UNUSED_PAD src0_sel:DWORD src1_sel:WORD_1
	v_add_u16_sdwa v17, v17, v13 dst_sel:DWORD dst_unused:UNUSED_PAD src0_sel:DWORD src1_sel:BYTE_3
	v_mbcnt_hi_u32_b32 v16, -1, v16
	v_and_b32_e32 v18, 15, v16
	v_and_b32_e32 v19, 0xff, v17
	v_cmp_ne_u32_e64 s[2:3], 0, v18
	s_nop 0
	v_mov_b32_dpp v19, v19 row_shr:1 row_mask:0xf bank_mask:0xf
	v_cndmask_b32_e64 v19, 0, v19, s[2:3]
	v_add_u16_e32 v17, v17, v19
	v_and_b32_e32 v19, 0xff, v17
	v_cmp_lt_u32_e64 s[2:3], 1, v18
	s_nop 0
	v_mov_b32_dpp v19, v19 row_shr:2 row_mask:0xf bank_mask:0xf
	v_cndmask_b32_e64 v19, 0, v19, s[2:3]
	v_add_u16_e32 v17, v17, v19
	v_and_b32_e32 v19, 0xff, v17
	v_cmp_lt_u32_e64 s[2:3], 3, v18
	;; [unrolled: 6-line block ×3, first 2 shown]
	s_nop 0
	v_mov_b32_dpp v19, v19 row_shr:8 row_mask:0xf bank_mask:0xf
	v_cndmask_b32_e64 v18, 0, v19, s[2:3]
	v_add_u16_e32 v17, v17, v18
	v_and_b32_e32 v18, 0xff, v17
	v_and_b32_e32 v19, 16, v16
	v_cmp_ne_u32_e64 s[2:3], 0, v19
	v_mov_b32_dpp v18, v18 row_bcast:15 row_mask:0xf bank_mask:0xf
	s_nop 0
	v_cndmask_b32_e64 v18, 0, v18, s[2:3]
	v_add_u16_e32 v17, v17, v18
	v_and_b32_e32 v18, 0xff, v17
	v_cmp_lt_u32_e64 s[2:3], 31, v16
	s_nop 0
	v_mov_b32_dpp v18, v18 row_bcast:31 row_mask:0xf bank_mask:0xf
	v_cndmask_b32_e64 v18, 0, v18, s[2:3]
	v_add_u16_e32 v17, v17, v18
	v_cmp_eq_u32_e64 s[2:3], v0, v15
	s_and_saveexec_b64 s[4:5], s[2:3]
; %bb.83:
	ds_write_b8 v1, v17
; %bb.84:
	s_or_b64 exec, exec, s[4:5]
	v_cmp_gt_u32_e64 s[2:3], 4, v0
	s_waitcnt lgkmcnt(0)
	s_barrier
	s_and_saveexec_b64 s[4:5], s[2:3]
	s_cbranch_execz .LBB16_86
; %bb.85:
	ds_read_u8 v15, v0
	v_and_b32_e32 v18, 3, v16
	v_cmp_ne_u32_e64 s[2:3], 0, v18
	s_waitcnt lgkmcnt(0)
	v_and_b32_e32 v19, 0xff, v15
	s_nop 1
	v_mov_b32_dpp v19, v19 row_shr:1 row_mask:0xf bank_mask:0xf
	v_cndmask_b32_e64 v19, 0, v19, s[2:3]
	v_add_u16_e32 v15, v19, v15
	v_and_b32_e32 v19, 0xff, v15
	v_cmp_lt_u32_e64 s[2:3], 1, v18
	s_nop 0
	v_mov_b32_dpp v19, v19 row_shr:2 row_mask:0xf bank_mask:0xf
	v_cndmask_b32_e64 v18, 0, v19, s[2:3]
	v_add_u16_e32 v15, v15, v18
	ds_write_b8 v0, v15
.LBB16_86:
	s_or_b64 exec, exec, s[4:5]
	v_cmp_lt_u32_e64 s[2:3], 63, v0
	s_waitcnt lgkmcnt(0)
	s_barrier
                                        ; implicit-def: $vgpr15
	s_and_saveexec_b64 s[4:5], s[2:3]
	s_cbranch_execz .LBB16_88
; %bb.87:
	v_add_u32_e32 v1, -1, v1
	ds_read_u8 v15, v1
	s_waitcnt lgkmcnt(0)
	v_add_u16_e32 v17, v15, v17
.LBB16_88:
	s_or_b64 exec, exec, s[4:5]
	v_subrev_co_u32_e64 v1, s[2:3], 1, v16
	v_and_b32_e32 v18, 64, v16
	v_cmp_lt_i32_e64 s[4:5], v1, v18
	s_nop 1
	v_cndmask_b32_e64 v1, v1, v16, s[4:5]
	v_lshlrev_b32_e32 v1, 2, v1
	v_and_b32_e32 v16, 0xff, v17
	ds_bpermute_b32 v1, v1, v16
	s_movk_i32 s4, 0xff
	s_waitcnt lgkmcnt(0)
	v_cndmask_b32_e64 v1, v1, v15, s[2:3]
	v_cndmask_b32_e64 v1, v1, 0, vcc
	v_add_u16_e32 v1, v1, v8
	v_add_u16_e32 v5, v1, v5
	v_add_u16_sdwa v15, v5, v8 dst_sel:DWORD dst_unused:UNUSED_PAD src0_sel:DWORD src1_sel:WORD_1
	v_add_u16_sdwa v8, v15, v8 dst_sel:DWORD dst_unused:UNUSED_PAD src0_sel:DWORD src1_sel:BYTE_3
	v_add_u16_e32 v16, v8, v9
	v_add_u16_e32 v4, v16, v4
	v_add_u16_sdwa v17, v4, v9 dst_sel:DWORD dst_unused:UNUSED_PAD src0_sel:DWORD src1_sel:WORD_1
	v_add_u16_sdwa v9, v17, v9 dst_sel:DWORD dst_unused:UNUSED_PAD src0_sel:DWORD src1_sel:BYTE_3
	;; [unrolled: 4-line block ×5, first 2 shown]
	v_add_u16_e32 v25, v12, v13
	v_add_u16_e32 v26, v25, v2
	v_lshlrev_b16_e32 v2, 8, v5
	v_bitop3_b16 v1, v1, v2, s4 bitop3:0xec
	v_lshlrev_b16_e32 v2, 8, v8
	v_bitop3_b16 v2, v15, v2, s4 bitop3:0xec
	v_lshlrev_b32_e32 v2, 16, v2
	v_lshlrev_b16_e32 v3, 8, v9
	v_or_b32_sdwa v2, v1, v2 dst_sel:DWORD dst_unused:UNUSED_PAD src0_sel:WORD_0 src1_sel:DWORD
	v_lshlrev_b16_e32 v1, 8, v4
	v_bitop3_b16 v3, v17, v3, s4 bitop3:0xec
	v_bitop3_b16 v1, v16, v1, s4 bitop3:0xec
	v_lshlrev_b32_e32 v3, 16, v3
	v_lshlrev_b16_e32 v4, 8, v10
	v_or_b32_sdwa v3, v1, v3 dst_sel:DWORD dst_unused:UNUSED_PAD src0_sel:WORD_0 src1_sel:DWORD
	v_lshlrev_b16_e32 v1, 8, v6
	v_bitop3_b16 v4, v19, v4, s4 bitop3:0xec
	;; [unrolled: 6-line block ×3, first 2 shown]
	v_bitop3_b16 v1, v20, v1, s4 bitop3:0xec
	v_lshlrev_b32_e32 v5, 16, v5
	v_lshlrev_b16_e32 v6, 8, v12
	v_add_u16_sdwa v27, v26, v13 dst_sel:DWORD dst_unused:UNUSED_PAD src0_sel:DWORD src1_sel:WORD_1
	v_or_b32_sdwa v5, v1, v5 dst_sel:DWORD dst_unused:UNUSED_PAD src0_sel:WORD_0 src1_sel:DWORD
	v_lshlrev_b16_e32 v1, 8, v7
	v_bitop3_b16 v6, v24, v6, s4 bitop3:0xec
	v_add_u16_sdwa v13, v27, v13 dst_sel:BYTE_1 dst_unused:UNUSED_PAD src0_sel:DWORD src1_sel:BYTE_3
	v_bitop3_b16 v1, v23, v1, s4 bitop3:0xec
	v_lshlrev_b32_e32 v6, 16, v6
	v_or_b32_sdwa v6, v1, v6 dst_sel:DWORD dst_unused:UNUSED_PAD src0_sel:WORD_0 src1_sel:DWORD
	v_lshlrev_b16_e32 v1, 8, v26
	v_bitop3_b16 v7, v27, v13, s4 bitop3:0xec
	v_bitop3_b16 v1, v25, v1, s4 bitop3:0xec
	v_lshlrev_b32_e32 v7, 16, v7
	v_or_b32_sdwa v7, v1, v7 dst_sel:DWORD dst_unused:UNUSED_PAD src0_sel:WORD_0 src1_sel:DWORD
	s_and_saveexec_b64 s[2:3], vcc
	s_cbranch_execz .LBB16_90
; %bb.89:
	v_mov_b32_e32 v1, 0
	ds_read_u8 v8, v1 offset:3
	s_waitcnt lgkmcnt(0)
	v_or_b32_e32 v8, 0x200, v8
	global_store_short v1, v8, s[12:13] offset:128 sc1
.LBB16_90:
	s_or_b64 exec, exec, s[2:3]
.LBB16_91:
	s_add_u32 s2, s14, s22
	s_addc_u32 s3, s15, 0
	s_waitcnt lgkmcnt(0)
	s_mov_b64 s[4:5], -1
	s_and_b64 vcc, exec, s[16:17]
	s_barrier
	s_cbranch_vccz .LBB16_93
; %bb.92:
	ds_write2_b64 v14, v[2:3], v[4:5] offset1:1
	ds_write_b64 v14, v[6:7] offset:16
	s_waitcnt lgkmcnt(0)
	s_barrier
	ds_read_u8 v10, v0
	ds_read_u8 v11, v0 offset:256
	ds_read_u8 v12, v0 offset:512
	;; [unrolled: 1-line block ×23, first 2 shown]
	v_mov_b32_e32 v1, 0
	v_lshl_add_u64 v[8:9], s[2:3], 0, v[0:1]
	v_add_co_u32_e32 v8, vcc, 0x1000, v8
	s_waitcnt lgkmcnt(14)
	global_store_byte v0, v10, s[2:3]
	global_store_byte v0, v11, s[2:3] offset:256
	global_store_byte v0, v12, s[2:3] offset:512
	global_store_byte v0, v13, s[2:3] offset:768
	global_store_byte v0, v15, s[2:3] offset:1024
	global_store_byte v0, v16, s[2:3] offset:1280
	global_store_byte v0, v17, s[2:3] offset:1536
	global_store_byte v0, v18, s[2:3] offset:1792
	global_store_byte v0, v19, s[2:3] offset:2048
	global_store_byte v0, v20, s[2:3] offset:2304
	s_waitcnt lgkmcnt(13)
	global_store_byte v0, v21, s[2:3] offset:2560
	s_waitcnt lgkmcnt(12)
	global_store_byte v0, v22, s[2:3] offset:2816
	;; [unrolled: 2-line block ×6, first 2 shown]
	v_addc_co_u32_e32 v9, vcc, 0, v9, vcc
	s_waitcnt lgkmcnt(7)
	global_store_byte v[8:9], v27, off
	s_waitcnt lgkmcnt(6)
	global_store_byte v[8:9], v28, off offset:256
	s_waitcnt lgkmcnt(5)
	global_store_byte v[8:9], v29, off offset:512
	;; [unrolled: 2-line block ×7, first 2 shown]
	s_mov_b64 s[4:5], 0
.LBB16_93:
	s_andn2_b64 vcc, exec, s[4:5]
	s_cbranch_vccnz .LBB16_150
; %bb.94:
	ds_write2_b64 v14, v[2:3], v[4:5] offset1:1
	ds_write_b64 v14, v[6:7] offset:16
	s_waitcnt lgkmcnt(0)
	s_barrier
	ds_read_u8 v7, v0
	ds_read_u8 v6, v0 offset:256
	ds_read_u8 v9, v0 offset:512
	;; [unrolled: 1-line block ×23, first 2 shown]
	v_mov_b32_e32 v1, 0
	v_lshl_add_u64 v[2:3], s[2:3], 0, v[0:1]
	v_cmp_gt_u32_e32 vcc, s20, v0
	s_and_saveexec_b64 s[2:3], vcc
	s_cbranch_execz .LBB16_96
; %bb.95:
	s_waitcnt lgkmcnt(14)
	global_store_byte v[2:3], v7, off
.LBB16_96:
	s_or_b64 exec, exec, s[2:3]
	v_or_b32_e32 v29, 0x100, v0
	v_cmp_gt_u32_e32 vcc, s20, v29
	s_and_saveexec_b64 s[2:3], vcc
	s_cbranch_execz .LBB16_98
; %bb.97:
	s_waitcnt lgkmcnt(14)
	global_store_byte v[2:3], v6, off offset:256
.LBB16_98:
	s_or_b64 exec, exec, s[2:3]
	v_or_b32_e32 v29, 0x200, v0
	v_cmp_gt_u32_e32 vcc, s20, v29
	s_and_saveexec_b64 s[2:3], vcc
	s_cbranch_execz .LBB16_100
; %bb.99:
	s_waitcnt lgkmcnt(14)
	global_store_byte v[2:3], v9, off offset:512
.LBB16_100:
	;; [unrolled: 9-line block ×15, first 2 shown]
	s_or_b64 exec, exec, s[2:3]
	v_or_b32_e32 v29, 0x1000, v0
	v_cmp_gt_u32_e32 vcc, s20, v29
	s_and_saveexec_b64 s[2:3], vcc
	s_cbranch_execz .LBB16_128
; %bb.127:
	v_add_co_u32_e32 v30, vcc, 0x1000, v2
	s_nop 1
	v_addc_co_u32_e32 v31, vcc, 0, v3, vcc
	s_waitcnt lgkmcnt(7)
	global_store_byte v[30:31], v25, off
.LBB16_128:
	s_or_b64 exec, exec, s[2:3]
	v_or_b32_e32 v29, 0x1100, v0
	v_cmp_gt_u32_e32 vcc, s20, v29
	s_and_saveexec_b64 s[2:3], vcc
	s_cbranch_execz .LBB16_130
; %bb.129:
	v_add_co_u32_e32 v30, vcc, 0x1000, v2
	s_nop 1
	v_addc_co_u32_e32 v31, vcc, 0, v3, vcc
	s_waitcnt lgkmcnt(6)
	global_store_byte v[30:31], v27, off offset:256
.LBB16_130:
	s_or_b64 exec, exec, s[2:3]
	v_or_b32_e32 v29, 0x1200, v0
	v_cmp_gt_u32_e32 vcc, s20, v29
	s_and_saveexec_b64 s[2:3], vcc
	s_cbranch_execz .LBB16_132
; %bb.131:
	v_add_co_u32_e32 v30, vcc, 0x1000, v2
	s_nop 1
	v_addc_co_u32_e32 v31, vcc, 0, v3, vcc
	s_waitcnt lgkmcnt(5)
	global_store_byte v[30:31], v28, off offset:512
.LBB16_132:
	;; [unrolled: 12-line block ×7, first 2 shown]
	s_or_b64 exec, exec, s[2:3]
	s_load_dword s0, s[0:1], 0x40
	s_waitcnt lgkmcnt(0)
	s_bfe_u32 s0, s0, 0x10008
	s_cmp_eq_u32 s0, 0
	s_cbranch_scc1 .LBB16_150
; %bb.143:
	s_add_u32 s0, s20, -1
	s_addc_u32 s1, s21, -1
	s_mul_i32 s5, s1, 0xaaaaaaab
	s_mul_hi_u32 s8, s0, 0xaaaaaaab
	s_mul_hi_u32 s4, s1, 0xaaaaaaab
	s_add_u32 s5, s5, s8
	s_mul_i32 s3, s0, 0xaaaaaaaa
	s_addc_u32 s4, s4, 0
	s_mul_hi_u32 s2, s0, 0xaaaaaaaa
	s_add_u32 s3, s3, s5
	s_addc_u32 s2, s2, 0
	s_add_u32 s2, s4, s2
	s_addc_u32 s3, 0, 0
	s_mul_i32 s5, s1, 0xaaaaaaaa
	s_mul_hi_u32 s4, s1, 0xaaaaaaaa
	s_add_u32 s2, s5, s2
	s_addc_u32 s3, s4, s3
	s_lshr_b64 s[2:3], s[2:3], 4
	v_cmp_eq_u64_e32 vcc, s[2:3], v[0:1]
	s_and_saveexec_b64 s[2:3], vcc
	s_cbranch_execz .LBB16_150
; %bb.144:
	v_mul_hi_u32_u24_e32 v1, 24, v0
	v_mov_b32_e32 v2, s1
	v_sub_co_u32_e32 v0, vcc, s0, v14
	s_mov_b64 s[0:1], 0
	s_nop 0
	v_subb_co_u32_e32 v1, vcc, v2, v1, vcc
	v_cmp_lt_i64_e32 vcc, 11, v[0:1]
	s_mov_b64 s[10:11], 0
	s_mov_b64 s[8:9], 0
	;; [unrolled: 1-line block ×3, first 2 shown]
	s_and_saveexec_b64 s[2:3], vcc
	s_xor_b64 s[2:3], exec, s[2:3]
	s_cbranch_execnz .LBB16_151
; %bb.145:
	s_andn2_saveexec_b64 s[2:3], s[2:3]
	s_cbranch_execnz .LBB16_196
.LBB16_146:
	s_or_b64 exec, exec, s[2:3]
	s_and_saveexec_b64 s[2:3], s[10:11]
	s_cbranch_execnz .LBB16_213
.LBB16_147:
	s_or_b64 exec, exec, s[2:3]
	s_and_saveexec_b64 s[2:3], s[8:9]
	s_cbranch_execnz .LBB16_214
.LBB16_148:
	s_or_b64 exec, exec, s[2:3]
	s_and_saveexec_b64 s[2:3], s[4:5]
	s_xor_b64 s[2:3], exec, s[2:3]
	s_cbranch_execnz .LBB16_215
.LBB16_149:
	s_or_b64 exec, exec, s[2:3]
	s_and_b64 exec, exec, s[0:1]
	s_cbranch_execnz .LBB16_216
.LBB16_150:
	s_endpgm
.LBB16_151:
	v_cmp_lt_i64_e32 vcc, 17, v[0:1]
	s_and_saveexec_b64 s[12:13], vcc
	s_xor_b64 s[12:13], exec, s[12:13]
	s_cbranch_execz .LBB16_173
; %bb.152:
	v_cmp_lt_i64_e32 vcc, 20, v[0:1]
	s_and_saveexec_b64 s[14:15], vcc
	s_xor_b64 s[14:15], exec, s[14:15]
	s_cbranch_execz .LBB16_162
; %bb.153:
	v_cmp_lt_i64_e32 vcc, 21, v[0:1]
	s_mov_b64 s[16:17], 0
	s_and_saveexec_b64 s[4:5], vcc
	s_xor_b64 s[4:5], exec, s[4:5]
	s_cbranch_execz .LBB16_159
; %bb.154:
	v_cmp_lt_i64_e32 vcc, 22, v[0:1]
	s_and_saveexec_b64 s[16:17], vcc
	s_xor_b64 s[16:17], exec, s[16:17]
	s_cbranch_execz .LBB16_156
; %bb.155:
	v_mov_b32_e32 v2, 0
	global_store_byte v2, v5, s[6:7]
.LBB16_156:
	s_or_saveexec_b64 s[16:17], s[16:17]
	s_mov_b64 s[18:19], 0
	s_xor_b64 exec, exec, s[16:17]
; %bb.157:
	s_mov_b64 s[18:19], exec
; %bb.158:
	s_or_b64 exec, exec, s[16:17]
	s_and_b64 s[16:17], s[18:19], exec
.LBB16_159:
	s_andn2_saveexec_b64 s[4:5], s[4:5]
; %bb.160:
	s_mov_b64 s[8:9], exec
; %bb.161:
	s_or_b64 exec, exec, s[4:5]
	s_and_b64 s[4:5], s[16:17], exec
	s_and_b64 s[8:9], s[8:9], exec
                                        ; implicit-def: $vgpr28
                                        ; implicit-def: $vgpr26
.LBB16_162:
	s_andn2_saveexec_b64 s[14:15], s[14:15]
	s_cbranch_execz .LBB16_172
; %bb.163:
	v_cmp_lt_i64_e32 vcc, 18, v[0:1]
	s_mov_b64 s[16:17], 0
	s_and_saveexec_b64 s[10:11], vcc
	s_xor_b64 s[10:11], exec, s[10:11]
	s_cbranch_execz .LBB16_169
; %bb.164:
	v_cmp_lt_i64_e32 vcc, 19, v[0:1]
	s_and_saveexec_b64 s[18:19], vcc
	s_xor_b64 s[18:19], exec, s[18:19]
; %bb.165:
	s_mov_b64 s[16:17], exec
                                        ; implicit-def: $vgpr26
; %bb.166:
	s_andn2_saveexec_b64 s[18:19], s[18:19]
	s_cbranch_execz .LBB16_168
; %bb.167:
	v_mov_b32_e32 v2, 0
	global_store_byte v2, v26, s[6:7]
.LBB16_168:
	s_or_b64 exec, exec, s[18:19]
	s_and_b64 s[16:17], s[16:17], exec
                                        ; implicit-def: $vgpr28
.LBB16_169:
	s_andn2_saveexec_b64 s[10:11], s[10:11]
	s_cbranch_execz .LBB16_171
; %bb.170:
	v_mov_b32_e32 v2, 0
	global_store_byte v2, v28, s[6:7]
.LBB16_171:
	s_or_b64 exec, exec, s[10:11]
	s_and_b64 s[10:11], s[16:17], exec
.LBB16_172:
	s_or_b64 exec, exec, s[14:15]
	s_and_b64 s[4:5], s[4:5], exec
	s_and_b64 s[8:9], s[8:9], exec
	;; [unrolled: 1-line block ×3, first 2 shown]
                                        ; implicit-def: $vgpr19
                                        ; implicit-def: $vgpr17
                                        ; implicit-def: $vgpr18
                                        ; implicit-def: $vgpr22
                                        ; implicit-def: $vgpr25
                                        ; implicit-def: $vgpr27
.LBB16_173:
	s_andn2_saveexec_b64 s[12:13], s[12:13]
	s_cbranch_execz .LBB16_195
; %bb.174:
	v_cmp_lt_i64_e32 vcc, 14, v[0:1]
	s_mov_b64 s[14:15], s[4:5]
	s_and_saveexec_b64 s[16:17], vcc
	s_xor_b64 s[16:17], exec, s[16:17]
	s_cbranch_execz .LBB16_184
; %bb.175:
	v_cmp_lt_i64_e32 vcc, 15, v[0:1]
	s_and_saveexec_b64 s[14:15], vcc
	s_xor_b64 s[14:15], exec, s[14:15]
	s_cbranch_execz .LBB16_181
; %bb.176:
	v_cmp_lt_i64_e32 vcc, 16, v[0:1]
	s_and_saveexec_b64 s[18:19], vcc
	s_xor_b64 s[18:19], exec, s[18:19]
	s_cbranch_execz .LBB16_178
; %bb.177:
	v_mov_b32_e32 v2, 0
	global_store_byte v2, v27, s[6:7]
                                        ; implicit-def: $vgpr25
.LBB16_178:
	s_andn2_saveexec_b64 s[18:19], s[18:19]
	s_cbranch_execz .LBB16_180
; %bb.179:
	v_mov_b32_e32 v2, 0
	global_store_byte v2, v25, s[6:7]
.LBB16_180:
	s_or_b64 exec, exec, s[18:19]
.LBB16_181:
	s_or_saveexec_b64 s[14:15], s[14:15]
	s_mov_b64 s[18:19], s[4:5]
	s_xor_b64 exec, exec, s[14:15]
; %bb.182:
	s_or_b64 s[18:19], s[4:5], exec
; %bb.183:
	s_or_b64 exec, exec, s[14:15]
	s_andn2_b64 s[14:15], s[4:5], exec
	s_and_b64 s[18:19], s[18:19], exec
	s_or_b64 s[14:15], s[14:15], s[18:19]
                                        ; implicit-def: $vgpr18
                                        ; implicit-def: $vgpr22
                                        ; implicit-def: $vgpr17
.LBB16_184:
	s_or_saveexec_b64 s[16:17], s[16:17]
	s_mov_b64 s[18:19], s[8:9]
                                        ; implicit-def: $vgpr12
	s_xor_b64 exec, exec, s[16:17]
	s_cbranch_execz .LBB16_194
; %bb.185:
	v_cmp_lt_i64_e32 vcc, 12, v[0:1]
	s_mov_b64 s[20:21], s[8:9]
	s_mov_b64 s[22:23], s[14:15]
	s_and_saveexec_b64 s[18:19], vcc
	s_xor_b64 s[18:19], exec, s[18:19]
	s_cbranch_execz .LBB16_191
; %bb.186:
	v_cmp_lt_i64_e32 vcc, 13, v[0:1]
	s_mov_b64 s[20:21], s[14:15]
	s_and_saveexec_b64 s[22:23], vcc
	s_xor_b64 s[22:23], exec, s[22:23]
; %bb.187:
	s_or_b64 s[20:21], s[14:15], exec
; %bb.188:
	s_or_saveexec_b64 s[22:23], s[22:23]
	s_mov_b64 s[24:25], s[8:9]
	s_xor_b64 exec, exec, s[22:23]
; %bb.189:
	s_or_b64 s[24:25], s[8:9], exec
; %bb.190:
	s_or_b64 exec, exec, s[22:23]
	s_andn2_b64 s[22:23], s[14:15], exec
	s_and_b64 s[20:21], s[20:21], exec
	s_or_b64 s[22:23], s[22:23], s[20:21]
	s_andn2_b64 s[20:21], s[8:9], exec
	s_and_b64 s[24:25], s[24:25], exec
	s_or_b64 s[20:21], s[20:21], s[24:25]
                                        ; implicit-def: $vgpr22
.LBB16_191:
	s_andn2_saveexec_b64 s[18:19], s[18:19]
; %bb.192:
	s_or_b64 s[20:21], s[20:21], exec
	v_mov_b32_e32 v18, v22
; %bb.193:
	s_or_b64 exec, exec, s[18:19]
	s_andn2_b64 s[14:15], s[14:15], exec
	s_and_b64 s[18:19], s[22:23], exec
	s_or_b64 s[14:15], s[14:15], s[18:19]
	s_andn2_b64 s[18:19], s[8:9], exec
	s_and_b64 s[20:21], s[20:21], exec
	s_or_b64 s[18:19], s[18:19], s[20:21]
	v_mov_b32_e32 v19, v17
	v_mov_b32_e32 v12, v18
.LBB16_194:
	s_or_b64 exec, exec, s[16:17]
	s_andn2_b64 s[4:5], s[4:5], exec
	s_and_b64 s[14:15], s[14:15], exec
	s_or_b64 s[4:5], s[4:5], s[14:15]
	s_andn2_b64 s[8:9], s[8:9], exec
	s_and_b64 s[14:15], s[18:19], exec
	s_or_b64 s[8:9], s[8:9], s[14:15]
	v_mov_b32_e32 v13, v19
.LBB16_195:
	s_or_b64 exec, exec, s[12:13]
	s_and_b64 s[4:5], s[4:5], exec
	s_and_b64 s[8:9], s[8:9], exec
	;; [unrolled: 1-line block ×3, first 2 shown]
                                        ; implicit-def: $vgpr20
                                        ; implicit-def: $vgpr24
                                        ; implicit-def: $vgpr21
                                        ; implicit-def: $vgpr23
                                        ; implicit-def: $vgpr15
                                        ; implicit-def: $vgpr16
	s_andn2_saveexec_b64 s[2:3], s[2:3]
	s_cbranch_execz .LBB16_146
.LBB16_196:
	v_cmp_lt_i64_e32 vcc, 5, v[0:1]
	s_mov_b64 s[14:15], -1
	s_mov_b64 s[12:13], s[10:11]
	s_mov_b64 s[16:17], s[8:9]
	;; [unrolled: 1-line block ×3, first 2 shown]
                                        ; implicit-def: $vgpr11
	s_and_saveexec_b64 s[0:1], vcc
	s_cbranch_execz .LBB16_212
; %bb.197:
	v_cmp_lt_i64_e32 vcc, 8, v[0:1]
	s_mov_b64 s[12:13], s[10:11]
                                        ; implicit-def: $vgpr11
	s_and_saveexec_b64 s[14:15], vcc
	s_xor_b64 s[14:15], exec, s[14:15]
	s_cbranch_execz .LBB16_207
; %bb.198:
	v_cmp_lt_i64_e32 vcc, 9, v[0:1]
	s_and_saveexec_b64 s[12:13], vcc
	s_xor_b64 s[12:13], exec, s[12:13]
	s_cbranch_execz .LBB16_204
; %bb.199:
	v_cmp_lt_i64_e32 vcc, 10, v[0:1]
	s_and_saveexec_b64 s[16:17], vcc
	s_xor_b64 s[16:17], exec, s[16:17]
; %bb.200:
                                        ; implicit-def: $vgpr23
; %bb.201:
	s_andn2_saveexec_b64 s[16:17], s[16:17]
; %bb.202:
	v_mov_b32_e32 v21, v23
; %bb.203:
	s_or_b64 exec, exec, s[16:17]
                                        ; implicit-def: $vgpr24
.LBB16_204:
	s_andn2_saveexec_b64 s[12:13], s[12:13]
; %bb.205:
	v_mov_b32_e32 v21, v24
; %bb.206:
	s_or_b64 exec, exec, s[12:13]
	s_or_b64 s[12:13], s[10:11], exec
	v_mov_b32_e32 v11, v21
                                        ; implicit-def: $vgpr20
.LBB16_207:
	s_or_saveexec_b64 s[14:15], s[14:15]
	s_mov_b64 s[16:17], s[8:9]
	s_mov_b64 s[20:21], s[4:5]
	s_xor_b64 exec, exec, s[14:15]
	s_cbranch_execz .LBB16_211
; %bb.208:
	v_cmp_lt_i64_e32 vcc, 6, v[0:1]
	s_mov_b64 s[20:21], -1
	s_mov_b64 s[18:19], s[12:13]
	s_mov_b64 s[16:17], s[8:9]
	s_and_saveexec_b64 s[22:23], vcc
; %bb.209:
	v_cmp_lt_i64_e32 vcc, 7, v[0:1]
	s_andn2_b64 s[18:19], s[12:13], exec
	s_and_b64 s[24:25], vcc, exec
	s_xor_b64 s[20:21], exec, -1
	s_or_b64 s[16:17], s[8:9], exec
	s_or_b64 s[18:19], s[18:19], s[24:25]
; %bb.210:
	s_or_b64 exec, exec, s[22:23]
	s_andn2_b64 s[22:23], s[4:5], exec
	s_and_b64 s[20:21], s[20:21], exec
	s_or_b64 s[20:21], s[22:23], s[20:21]
	s_andn2_b64 s[22:23], s[8:9], exec
	s_and_b64 s[16:17], s[16:17], exec
	s_andn2_b64 s[12:13], s[12:13], exec
	s_and_b64 s[18:19], s[18:19], exec
	s_or_b64 s[16:17], s[22:23], s[16:17]
	s_or_b64 s[12:13], s[12:13], s[18:19]
	v_mov_b32_e32 v11, v20
.LBB16_211:
	s_or_b64 exec, exec, s[14:15]
	s_andn2_b64 s[18:19], s[4:5], exec
	s_and_b64 s[20:21], s[20:21], exec
	s_or_b64 s[18:19], s[18:19], s[20:21]
	s_andn2_b64 s[20:21], s[8:9], exec
	s_and_b64 s[16:17], s[16:17], exec
	s_or_b64 s[16:17], s[20:21], s[16:17]
	s_andn2_b64 s[20:21], s[10:11], exec
	s_and_b64 s[12:13], s[12:13], exec
	s_xor_b64 s[14:15], exec, -1
	s_or_b64 s[12:13], s[20:21], s[12:13]
.LBB16_212:
	s_or_b64 exec, exec, s[0:1]
	s_and_b64 s[0:1], s[14:15], exec
	s_andn2_b64 s[4:5], s[4:5], exec
	s_and_b64 s[14:15], s[18:19], exec
	s_or_b64 s[4:5], s[4:5], s[14:15]
	s_andn2_b64 s[8:9], s[8:9], exec
	s_and_b64 s[14:15], s[16:17], exec
	s_andn2_b64 s[10:11], s[10:11], exec
	s_and_b64 s[12:13], s[12:13], exec
	s_or_b64 s[8:9], s[8:9], s[14:15]
	s_or_b64 s[10:11], s[10:11], s[12:13]
	v_mov_b32_e32 v13, v15
	v_mov_b32_e32 v12, v16
	s_or_b64 exec, exec, s[2:3]
	s_and_saveexec_b64 s[2:3], s[10:11]
	s_cbranch_execz .LBB16_147
.LBB16_213:
	v_mov_b32_e32 v2, 0
	s_andn2_b64 s[8:9], s[8:9], exec
	global_store_byte v2, v11, s[6:7]
	s_or_b64 exec, exec, s[2:3]
	s_and_saveexec_b64 s[2:3], s[8:9]
	s_cbranch_execz .LBB16_148
.LBB16_214:
	v_mov_b32_e32 v2, 0
	global_store_byte v2, v12, s[6:7]
	s_or_b64 exec, exec, s[2:3]
	s_and_saveexec_b64 s[2:3], s[4:5]
	s_xor_b64 s[2:3], exec, s[2:3]
	s_cbranch_execz .LBB16_149
.LBB16_215:
	v_mov_b32_e32 v2, 0
	global_store_byte v2, v13, s[6:7]
	s_or_b64 exec, exec, s[2:3]
	s_and_b64 exec, exec, s[0:1]
	s_cbranch_execz .LBB16_150
.LBB16_216:
	v_cmp_lt_i64_e32 vcc, 2, v[0:1]
	s_and_saveexec_b64 s[0:1], vcc
	s_xor_b64 s[0:1], exec, s[0:1]
	s_cbranch_execz .LBB16_226
; %bb.217:
	v_cmp_lt_i64_e32 vcc, 3, v[0:1]
	s_and_saveexec_b64 s[2:3], vcc
	s_xor_b64 s[2:3], exec, s[2:3]
	s_cbranch_execz .LBB16_223
; %bb.218:
	;; [unrolled: 5-line block ×3, first 2 shown]
	v_mov_b32_e32 v0, 0
	global_store_byte v0, v4, s[6:7]
                                        ; implicit-def: $vgpr8
.LBB16_220:
	s_andn2_saveexec_b64 s[4:5], s[4:5]
	s_cbranch_execz .LBB16_222
; %bb.221:
	v_mov_b32_e32 v0, 0
	global_store_byte v0, v8, s[6:7]
.LBB16_222:
	s_or_b64 exec, exec, s[4:5]
                                        ; implicit-def: $vgpr10
.LBB16_223:
	s_andn2_saveexec_b64 s[2:3], s[2:3]
	s_cbranch_execz .LBB16_225
; %bb.224:
	v_mov_b32_e32 v0, 0
	global_store_byte v0, v10, s[6:7]
.LBB16_225:
	s_or_b64 exec, exec, s[2:3]
                                        ; implicit-def: $vgpr0_vgpr1
                                        ; implicit-def: $vgpr9
                                        ; implicit-def: $vgpr6
                                        ; implicit-def: $vgpr7
.LBB16_226:
	s_andn2_saveexec_b64 s[0:1], s[0:1]
	s_cbranch_execz .LBB16_150
; %bb.227:
	v_cmp_lt_i64_e32 vcc, 1, v[0:1]
	s_and_saveexec_b64 s[0:1], vcc
	s_xor_b64 s[0:1], exec, s[0:1]
	s_cbranch_execz .LBB16_229
; %bb.228:
	v_mov_b32_e32 v0, 0
	global_store_byte v0, v9, s[6:7]
                                        ; implicit-def: $vgpr6
                                        ; implicit-def: $vgpr0_vgpr1
                                        ; implicit-def: $vgpr7
.LBB16_229:
	s_andn2_saveexec_b64 s[0:1], s[0:1]
	s_cbranch_execz .LBB16_150
; %bb.230:
	v_cmp_ne_u64_e32 vcc, 1, v[0:1]
	s_and_saveexec_b64 s[0:1], vcc
	s_xor_b64 s[0:1], exec, s[0:1]
	s_cbranch_execz .LBB16_232
; %bb.231:
	v_mov_b32_e32 v0, 0
	global_store_byte v0, v7, s[6:7]
                                        ; implicit-def: $vgpr6
.LBB16_232:
	s_andn2_saveexec_b64 s[0:1], s[0:1]
	s_cbranch_execz .LBB16_150
; %bb.233:
	v_mov_b32_e32 v0, 0
	global_store_byte v0, v6, s[6:7]
	s_endpgm
	.section	.rodata,"a",@progbits
	.p2align	6, 0x0
	.amdhsa_kernel _ZN7rocprim17ROCPRIM_304000_NS6detail20lookback_scan_kernelILNS1_25lookback_scan_determinismE0ELb0ENS1_19wrapped_scan_configINS0_14default_configEaEEPKaPaSt4plusIaEaaNS1_19lookback_scan_stateIaLb0ELb1EEEEEvT2_T3_mT5_T4_T7_jPT6_SK_bb
		.amdhsa_group_segment_fixed_size 6144
		.amdhsa_private_segment_fixed_size 0
		.amdhsa_kernarg_size 68
		.amdhsa_user_sgpr_count 2
		.amdhsa_user_sgpr_dispatch_ptr 0
		.amdhsa_user_sgpr_queue_ptr 0
		.amdhsa_user_sgpr_kernarg_segment_ptr 1
		.amdhsa_user_sgpr_dispatch_id 0
		.amdhsa_user_sgpr_kernarg_preload_length 0
		.amdhsa_user_sgpr_kernarg_preload_offset 0
		.amdhsa_user_sgpr_private_segment_size 0
		.amdhsa_uses_dynamic_stack 0
		.amdhsa_enable_private_segment 0
		.amdhsa_system_sgpr_workgroup_id_x 1
		.amdhsa_system_sgpr_workgroup_id_y 0
		.amdhsa_system_sgpr_workgroup_id_z 0
		.amdhsa_system_sgpr_workgroup_info 0
		.amdhsa_system_vgpr_workitem_id 0
		.amdhsa_next_free_vgpr 45
		.amdhsa_next_free_sgpr 26
		.amdhsa_accum_offset 48
		.amdhsa_reserve_vcc 1
		.amdhsa_float_round_mode_32 0
		.amdhsa_float_round_mode_16_64 0
		.amdhsa_float_denorm_mode_32 3
		.amdhsa_float_denorm_mode_16_64 3
		.amdhsa_dx10_clamp 1
		.amdhsa_ieee_mode 1
		.amdhsa_fp16_overflow 0
		.amdhsa_tg_split 0
		.amdhsa_exception_fp_ieee_invalid_op 0
		.amdhsa_exception_fp_denorm_src 0
		.amdhsa_exception_fp_ieee_div_zero 0
		.amdhsa_exception_fp_ieee_overflow 0
		.amdhsa_exception_fp_ieee_underflow 0
		.amdhsa_exception_fp_ieee_inexact 0
		.amdhsa_exception_int_div_zero 0
	.end_amdhsa_kernel
	.section	.text._ZN7rocprim17ROCPRIM_304000_NS6detail20lookback_scan_kernelILNS1_25lookback_scan_determinismE0ELb0ENS1_19wrapped_scan_configINS0_14default_configEaEEPKaPaSt4plusIaEaaNS1_19lookback_scan_stateIaLb0ELb1EEEEEvT2_T3_mT5_T4_T7_jPT6_SK_bb,"axG",@progbits,_ZN7rocprim17ROCPRIM_304000_NS6detail20lookback_scan_kernelILNS1_25lookback_scan_determinismE0ELb0ENS1_19wrapped_scan_configINS0_14default_configEaEEPKaPaSt4plusIaEaaNS1_19lookback_scan_stateIaLb0ELb1EEEEEvT2_T3_mT5_T4_T7_jPT6_SK_bb,comdat
.Lfunc_end16:
	.size	_ZN7rocprim17ROCPRIM_304000_NS6detail20lookback_scan_kernelILNS1_25lookback_scan_determinismE0ELb0ENS1_19wrapped_scan_configINS0_14default_configEaEEPKaPaSt4plusIaEaaNS1_19lookback_scan_stateIaLb0ELb1EEEEEvT2_T3_mT5_T4_T7_jPT6_SK_bb, .Lfunc_end16-_ZN7rocprim17ROCPRIM_304000_NS6detail20lookback_scan_kernelILNS1_25lookback_scan_determinismE0ELb0ENS1_19wrapped_scan_configINS0_14default_configEaEEPKaPaSt4plusIaEaaNS1_19lookback_scan_stateIaLb0ELb1EEEEEvT2_T3_mT5_T4_T7_jPT6_SK_bb
                                        ; -- End function
	.set _ZN7rocprim17ROCPRIM_304000_NS6detail20lookback_scan_kernelILNS1_25lookback_scan_determinismE0ELb0ENS1_19wrapped_scan_configINS0_14default_configEaEEPKaPaSt4plusIaEaaNS1_19lookback_scan_stateIaLb0ELb1EEEEEvT2_T3_mT5_T4_T7_jPT6_SK_bb.num_vgpr, 45
	.set _ZN7rocprim17ROCPRIM_304000_NS6detail20lookback_scan_kernelILNS1_25lookback_scan_determinismE0ELb0ENS1_19wrapped_scan_configINS0_14default_configEaEEPKaPaSt4plusIaEaaNS1_19lookback_scan_stateIaLb0ELb1EEEEEvT2_T3_mT5_T4_T7_jPT6_SK_bb.num_agpr, 0
	.set _ZN7rocprim17ROCPRIM_304000_NS6detail20lookback_scan_kernelILNS1_25lookback_scan_determinismE0ELb0ENS1_19wrapped_scan_configINS0_14default_configEaEEPKaPaSt4plusIaEaaNS1_19lookback_scan_stateIaLb0ELb1EEEEEvT2_T3_mT5_T4_T7_jPT6_SK_bb.numbered_sgpr, 26
	.set _ZN7rocprim17ROCPRIM_304000_NS6detail20lookback_scan_kernelILNS1_25lookback_scan_determinismE0ELb0ENS1_19wrapped_scan_configINS0_14default_configEaEEPKaPaSt4plusIaEaaNS1_19lookback_scan_stateIaLb0ELb1EEEEEvT2_T3_mT5_T4_T7_jPT6_SK_bb.num_named_barrier, 0
	.set _ZN7rocprim17ROCPRIM_304000_NS6detail20lookback_scan_kernelILNS1_25lookback_scan_determinismE0ELb0ENS1_19wrapped_scan_configINS0_14default_configEaEEPKaPaSt4plusIaEaaNS1_19lookback_scan_stateIaLb0ELb1EEEEEvT2_T3_mT5_T4_T7_jPT6_SK_bb.private_seg_size, 0
	.set _ZN7rocprim17ROCPRIM_304000_NS6detail20lookback_scan_kernelILNS1_25lookback_scan_determinismE0ELb0ENS1_19wrapped_scan_configINS0_14default_configEaEEPKaPaSt4plusIaEaaNS1_19lookback_scan_stateIaLb0ELb1EEEEEvT2_T3_mT5_T4_T7_jPT6_SK_bb.uses_vcc, 1
	.set _ZN7rocprim17ROCPRIM_304000_NS6detail20lookback_scan_kernelILNS1_25lookback_scan_determinismE0ELb0ENS1_19wrapped_scan_configINS0_14default_configEaEEPKaPaSt4plusIaEaaNS1_19lookback_scan_stateIaLb0ELb1EEEEEvT2_T3_mT5_T4_T7_jPT6_SK_bb.uses_flat_scratch, 0
	.set _ZN7rocprim17ROCPRIM_304000_NS6detail20lookback_scan_kernelILNS1_25lookback_scan_determinismE0ELb0ENS1_19wrapped_scan_configINS0_14default_configEaEEPKaPaSt4plusIaEaaNS1_19lookback_scan_stateIaLb0ELb1EEEEEvT2_T3_mT5_T4_T7_jPT6_SK_bb.has_dyn_sized_stack, 0
	.set _ZN7rocprim17ROCPRIM_304000_NS6detail20lookback_scan_kernelILNS1_25lookback_scan_determinismE0ELb0ENS1_19wrapped_scan_configINS0_14default_configEaEEPKaPaSt4plusIaEaaNS1_19lookback_scan_stateIaLb0ELb1EEEEEvT2_T3_mT5_T4_T7_jPT6_SK_bb.has_recursion, 0
	.set _ZN7rocprim17ROCPRIM_304000_NS6detail20lookback_scan_kernelILNS1_25lookback_scan_determinismE0ELb0ENS1_19wrapped_scan_configINS0_14default_configEaEEPKaPaSt4plusIaEaaNS1_19lookback_scan_stateIaLb0ELb1EEEEEvT2_T3_mT5_T4_T7_jPT6_SK_bb.has_indirect_call, 0
	.section	.AMDGPU.csdata,"",@progbits
; Kernel info:
; codeLenInByte = 8976
; TotalNumSgprs: 32
; NumVgprs: 45
; NumAgprs: 0
; TotalNumVgprs: 45
; ScratchSize: 0
; MemoryBound: 0
; FloatMode: 240
; IeeeMode: 1
; LDSByteSize: 6144 bytes/workgroup (compile time only)
; SGPRBlocks: 3
; VGPRBlocks: 5
; NumSGPRsForWavesPerEU: 32
; NumVGPRsForWavesPerEU: 45
; AccumOffset: 48
; Occupancy: 8
; WaveLimiterHint : 1
; COMPUTE_PGM_RSRC2:SCRATCH_EN: 0
; COMPUTE_PGM_RSRC2:USER_SGPR: 2
; COMPUTE_PGM_RSRC2:TRAP_HANDLER: 0
; COMPUTE_PGM_RSRC2:TGID_X_EN: 1
; COMPUTE_PGM_RSRC2:TGID_Y_EN: 0
; COMPUTE_PGM_RSRC2:TGID_Z_EN: 0
; COMPUTE_PGM_RSRC2:TIDIG_COMP_CNT: 0
; COMPUTE_PGM_RSRC3_GFX90A:ACCUM_OFFSET: 11
; COMPUTE_PGM_RSRC3_GFX90A:TG_SPLIT: 0
	.section	.text._ZN7rocprim17ROCPRIM_304000_NS6detail16transform_kernelINS1_24wrapped_transform_configINS0_14default_configEaEEaPaS6_NS0_8identityIaEEEEvT1_mT2_T3_,"axG",@progbits,_ZN7rocprim17ROCPRIM_304000_NS6detail16transform_kernelINS1_24wrapped_transform_configINS0_14default_configEaEEaPaS6_NS0_8identityIaEEEEvT1_mT2_T3_,comdat
	.protected	_ZN7rocprim17ROCPRIM_304000_NS6detail16transform_kernelINS1_24wrapped_transform_configINS0_14default_configEaEEaPaS6_NS0_8identityIaEEEEvT1_mT2_T3_ ; -- Begin function _ZN7rocprim17ROCPRIM_304000_NS6detail16transform_kernelINS1_24wrapped_transform_configINS0_14default_configEaEEaPaS6_NS0_8identityIaEEEEvT1_mT2_T3_
	.globl	_ZN7rocprim17ROCPRIM_304000_NS6detail16transform_kernelINS1_24wrapped_transform_configINS0_14default_configEaEEaPaS6_NS0_8identityIaEEEEvT1_mT2_T3_
	.p2align	8
	.type	_ZN7rocprim17ROCPRIM_304000_NS6detail16transform_kernelINS1_24wrapped_transform_configINS0_14default_configEaEEaPaS6_NS0_8identityIaEEEEvT1_mT2_T3_,@function
_ZN7rocprim17ROCPRIM_304000_NS6detail16transform_kernelINS1_24wrapped_transform_configINS0_14default_configEaEEaPaS6_NS0_8identityIaEEEEvT1_mT2_T3_: ; @_ZN7rocprim17ROCPRIM_304000_NS6detail16transform_kernelINS1_24wrapped_transform_configINS0_14default_configEaEEaPaS6_NS0_8identityIaEEEEvT1_mT2_T3_
; %bb.0:
	s_load_dword s3, s[0:1], 0x20
	s_load_dwordx4 s[4:7], s[0:1], 0x0
	s_load_dwordx2 s[14:15], s[0:1], 0x10
	s_lshl_b32 s20, s2, 10
	v_mov_b32_e32 v1, 0
	s_waitcnt lgkmcnt(0)
	s_add_i32 s3, s3, -1
	s_add_u32 s0, s4, s20
	s_addc_u32 s1, s5, 0
	s_cmp_lg_u32 s2, s3
	v_lshl_add_u64 v[2:3], s[0:1], 0, v[0:1]
	s_cbranch_scc0 .LBB17_2
; %bb.1:
	global_load_ubyte v5, v[2:3], off
	global_load_ubyte v8, v[2:3], off offset:128
	global_load_ubyte v9, v[2:3], off offset:256
	global_load_ubyte v10, v[2:3], off offset:384
	global_load_ubyte v11, v[2:3], off offset:512
	global_load_ubyte v12, v[2:3], off offset:640
	global_load_ubyte v13, v[2:3], off offset:768
	global_load_ubyte v4, v[2:3], off offset:896
	s_add_u32 s2, s14, s20
	s_addc_u32 s3, s15, 0
	v_lshl_add_u64 v[6:7], s[2:3], 0, v[0:1]
	s_mov_b64 s[16:17], -1
	s_waitcnt vmcnt(7)
	global_store_byte v[6:7], v5, off
	s_waitcnt vmcnt(7)
	global_store_byte v[6:7], v8, off offset:128
	s_waitcnt vmcnt(7)
	global_store_byte v[6:7], v9, off offset:256
	;; [unrolled: 2-line block ×6, first 2 shown]
	s_cbranch_execz .LBB17_3
	s_branch .LBB17_34
.LBB17_2:
	s_mov_b64 s[16:17], 0
                                        ; implicit-def: $vgpr4
.LBB17_3:
	s_sub_i32 s18, s6, s20
	v_cmp_gt_u32_e32 vcc, s18, v0
	v_mov_b32_e32 v12, 0
	v_mov_b32_e32 v13, 0
	;; [unrolled: 1-line block ×7, first 2 shown]
	s_and_saveexec_b64 s[0:1], vcc
	s_cbranch_execz .LBB17_5
; %bb.4:
	global_load_ubyte v13, v[2:3], off
	v_mov_b32_e32 v14, 0
	v_mov_b32_e32 v8, 0
	;; [unrolled: 1-line block ×5, first 2 shown]
.LBB17_5:
	s_or_b64 exec, exec, s[0:1]
	s_waitcnt vmcnt(7)
	v_or_b32_e32 v4, 0x80, v0
	v_cmp_gt_u32_e64 s[0:1], s18, v4
	v_mov_b32_e32 v15, v12
	s_and_saveexec_b64 s[2:3], s[0:1]
	s_cbranch_execz .LBB17_7
; %bb.6:
	global_load_ubyte v15, v[2:3], off offset:128
.LBB17_7:
	s_or_b64 exec, exec, s[2:3]
	v_or_b32_e32 v4, 0x100, v0
	v_cmp_gt_u32_e64 s[2:3], s18, v4
	s_and_saveexec_b64 s[4:5], s[2:3]
	s_cbranch_execz .LBB17_9
; %bb.8:
	global_load_ubyte v12, v[2:3], off offset:256
.LBB17_9:
	s_or_b64 exec, exec, s[4:5]
	v_or_b32_e32 v4, 0x180, v0
	v_cmp_gt_u32_e64 s[4:5], s18, v4
	;; [unrolled: 8-line block ×6, first 2 shown]
	s_and_saveexec_b64 s[18:19], s[12:13]
	s_cbranch_execz .LBB17_19
; %bb.18:
	global_load_ubyte v11, v[2:3], off offset:896
.LBB17_19:
	s_or_b64 exec, exec, s[18:19]
	s_mov_b32 s18, 0xffff
	s_waitcnt vmcnt(0)
	v_and_b32_sdwa v2, s18, v13 dst_sel:DWORD dst_unused:UNUSED_PAD src0_sel:DWORD src1_sel:BYTE_0
	s_add_u32 s18, s14, s20
	s_addc_u32 s19, s15, 0
	v_mov_b32_e32 v5, 0
	v_cndmask_b32_e32 v4, 0, v2, vcc
	v_lshl_add_u64 v[2:3], s[18:19], 0, v[0:1]
	s_and_saveexec_b64 s[18:19], vcc
	s_cbranch_execz .LBB17_21
; %bb.20:
	global_store_byte v[2:3], v4, off
.LBB17_21:
	s_or_b64 exec, exec, s[18:19]
	s_mov_b32 s18, 0xc0c0004
	v_perm_b32 v6, v13, v15, s18
	v_perm_b32 v7, v12, v14, s18
	v_lshl_or_b32 v16, v7, 16, v6
	v_cndmask_b32_e64 v17, v4, v16, s[0:1]
	s_and_saveexec_b64 s[18:19], s[0:1]
	s_cbranch_execz .LBB17_23
; %bb.22:
	v_lshrrev_b32_e32 v6, 8, v17
	global_store_byte v[2:3], v6, off offset:128
.LBB17_23:
	s_or_b64 exec, exec, s[18:19]
	s_movk_i32 s0, 0xff00
	s_mov_b64 vcc, s[2:3]
	v_bitop3_b16 v18, v4, v17, s0 bitop3:0xf8
	v_lshrrev_b64 v[6:7], 24, v[4:5]
	v_mov_b32_e32 v5, 8
	v_lshrrev_b32_sdwa v5, v5, v17 dst_sel:BYTE_1 dst_unused:UNUSED_PAD src0_sel:DWORD src1_sel:DWORD
	v_cndmask_b32_sdwa v7, v18, v16, vcc dst_sel:DWORD dst_unused:UNUSED_PAD src0_sel:WORD_0 src1_sel:DWORD
	s_and_saveexec_b64 s[0:1], s[2:3]
	s_cbranch_execz .LBB17_25
; %bb.24:
	global_store_byte_d16_hi v[2:3], v7, off offset:256
.LBB17_25:
	s_or_b64 exec, exec, s[0:1]
	s_mov_b32 s0, 0xc0c0006
	v_or_b32_e32 v4, v4, v5
	v_perm_b32 v6, v7, v6, s0
	v_and_b32_e32 v4, 0xffff, v4
	s_mov_b32 s0, 0xc0c0004
	v_lshl_or_b32 v4, v6, 16, v4
	v_perm_b32 v5, v13, v15, s0
	v_perm_b32 v6, v12, v14, s0
	v_lshl_or_b32 v5, v6, 16, v5
	v_cndmask_b32_e64 v4, v4, v5, s[4:5]
	v_perm_b32 v5, v8, v9, s0
	v_perm_b32 v6, v10, v11, s0
	v_lshl_or_b32 v5, v6, 16, v5
	s_and_saveexec_b64 s[0:1], s[4:5]
	s_cbranch_execz .LBB17_27
; %bb.26:
	v_lshrrev_b32_e32 v4, 24, v4
	global_store_byte v[2:3], v4, off offset:384
.LBB17_27:
	s_or_b64 exec, exec, s[0:1]
	v_cndmask_b32_e64 v5, 0, v5, s[6:7]
	s_and_saveexec_b64 s[0:1], s[6:7]
	s_cbranch_execz .LBB17_29
; %bb.28:
	global_store_byte v[2:3], v5, off offset:512
.LBB17_29:
	s_or_b64 exec, exec, s[0:1]
	s_mov_b32 s0, 0xc0c0004
	v_perm_b32 v4, v8, v9, s0
	v_perm_b32 v6, v10, v11, s0
	v_lshl_or_b32 v4, v6, 16, v4
	s_mov_b64 vcc, s[8:9]
	v_cndmask_b32_sdwa v4, v5, v4, vcc dst_sel:DWORD dst_unused:UNUSED_PAD src0_sel:BYTE_0 src1_sel:DWORD
	v_lshrrev_b32_e32 v6, 8, v4
	s_and_saveexec_b64 s[0:1], s[8:9]
	s_cbranch_execnz .LBB17_37
; %bb.30:
	s_or_b64 exec, exec, s[0:1]
	s_and_saveexec_b64 s[0:1], s[10:11]
	s_cbranch_execnz .LBB17_38
.LBB17_31:
	s_or_b64 exec, exec, s[0:1]
                                        ; implicit-def: $vgpr4
	s_and_saveexec_b64 s[0:1], s[12:13]
.LBB17_32:
	s_mov_b32 s2, 0xc0c0004
	v_perm_b32 v2, v8, v9, s2
	v_perm_b32 v3, v10, v11, s2
	v_lshl_or_b32 v2, v3, 16, v2
	v_perm_b32 v3, v5, v6, s2
	v_cndmask_b32_e64 v2, v3, v2, s[12:13]
	v_lshrrev_b32_e32 v4, 24, v2
	s_or_b64 s[16:17], s[16:17], exec
.LBB17_33:
	s_or_b64 exec, exec, s[0:1]
.LBB17_34:
	s_and_saveexec_b64 s[0:1], s[16:17]
	s_cbranch_execnz .LBB17_36
; %bb.35:
	s_endpgm
.LBB17_36:
	s_add_u32 s0, s14, s20
	s_addc_u32 s1, s15, 0
	v_lshl_add_u64 v[0:1], s[0:1], 0, v[0:1]
	s_waitcnt vmcnt(7)
	global_store_byte v[0:1], v4, off offset:896
	s_endpgm
.LBB17_37:
	global_store_byte v[2:3], v6, off offset:640
	s_or_b64 exec, exec, s[0:1]
	s_and_saveexec_b64 s[0:1], s[10:11]
	s_cbranch_execz .LBB17_31
.LBB17_38:
	s_mov_b32 s2, 0xc0c0004
	v_perm_b32 v4, v8, v9, s2
	v_perm_b32 v7, v10, v11, s2
	v_lshl_or_b32 v4, v7, 16, v4
	v_perm_b32 v7, v5, v6, s2
	v_cndmask_b32_e64 v4, v7, v4, s[10:11]
	global_store_byte_d16_hi v[2:3], v4, off offset:768
	s_or_b64 exec, exec, s[0:1]
                                        ; implicit-def: $vgpr4
	s_and_saveexec_b64 s[0:1], s[12:13]
	s_cbranch_execnz .LBB17_32
	s_branch .LBB17_33
	.section	.rodata,"a",@progbits
	.p2align	6, 0x0
	.amdhsa_kernel _ZN7rocprim17ROCPRIM_304000_NS6detail16transform_kernelINS1_24wrapped_transform_configINS0_14default_configEaEEaPaS6_NS0_8identityIaEEEEvT1_mT2_T3_
		.amdhsa_group_segment_fixed_size 0
		.amdhsa_private_segment_fixed_size 0
		.amdhsa_kernarg_size 288
		.amdhsa_user_sgpr_count 2
		.amdhsa_user_sgpr_dispatch_ptr 0
		.amdhsa_user_sgpr_queue_ptr 0
		.amdhsa_user_sgpr_kernarg_segment_ptr 1
		.amdhsa_user_sgpr_dispatch_id 0
		.amdhsa_user_sgpr_kernarg_preload_length 0
		.amdhsa_user_sgpr_kernarg_preload_offset 0
		.amdhsa_user_sgpr_private_segment_size 0
		.amdhsa_uses_dynamic_stack 0
		.amdhsa_enable_private_segment 0
		.amdhsa_system_sgpr_workgroup_id_x 1
		.amdhsa_system_sgpr_workgroup_id_y 0
		.amdhsa_system_sgpr_workgroup_id_z 0
		.amdhsa_system_sgpr_workgroup_info 0
		.amdhsa_system_vgpr_workitem_id 0
		.amdhsa_next_free_vgpr 19
		.amdhsa_next_free_sgpr 21
		.amdhsa_accum_offset 20
		.amdhsa_reserve_vcc 1
		.amdhsa_float_round_mode_32 0
		.amdhsa_float_round_mode_16_64 0
		.amdhsa_float_denorm_mode_32 3
		.amdhsa_float_denorm_mode_16_64 3
		.amdhsa_dx10_clamp 1
		.amdhsa_ieee_mode 1
		.amdhsa_fp16_overflow 0
		.amdhsa_tg_split 0
		.amdhsa_exception_fp_ieee_invalid_op 0
		.amdhsa_exception_fp_denorm_src 0
		.amdhsa_exception_fp_ieee_div_zero 0
		.amdhsa_exception_fp_ieee_overflow 0
		.amdhsa_exception_fp_ieee_underflow 0
		.amdhsa_exception_fp_ieee_inexact 0
		.amdhsa_exception_int_div_zero 0
	.end_amdhsa_kernel
	.section	.text._ZN7rocprim17ROCPRIM_304000_NS6detail16transform_kernelINS1_24wrapped_transform_configINS0_14default_configEaEEaPaS6_NS0_8identityIaEEEEvT1_mT2_T3_,"axG",@progbits,_ZN7rocprim17ROCPRIM_304000_NS6detail16transform_kernelINS1_24wrapped_transform_configINS0_14default_configEaEEaPaS6_NS0_8identityIaEEEEvT1_mT2_T3_,comdat
.Lfunc_end17:
	.size	_ZN7rocprim17ROCPRIM_304000_NS6detail16transform_kernelINS1_24wrapped_transform_configINS0_14default_configEaEEaPaS6_NS0_8identityIaEEEEvT1_mT2_T3_, .Lfunc_end17-_ZN7rocprim17ROCPRIM_304000_NS6detail16transform_kernelINS1_24wrapped_transform_configINS0_14default_configEaEEaPaS6_NS0_8identityIaEEEEvT1_mT2_T3_
                                        ; -- End function
	.set _ZN7rocprim17ROCPRIM_304000_NS6detail16transform_kernelINS1_24wrapped_transform_configINS0_14default_configEaEEaPaS6_NS0_8identityIaEEEEvT1_mT2_T3_.num_vgpr, 19
	.set _ZN7rocprim17ROCPRIM_304000_NS6detail16transform_kernelINS1_24wrapped_transform_configINS0_14default_configEaEEaPaS6_NS0_8identityIaEEEEvT1_mT2_T3_.num_agpr, 0
	.set _ZN7rocprim17ROCPRIM_304000_NS6detail16transform_kernelINS1_24wrapped_transform_configINS0_14default_configEaEEaPaS6_NS0_8identityIaEEEEvT1_mT2_T3_.numbered_sgpr, 21
	.set _ZN7rocprim17ROCPRIM_304000_NS6detail16transform_kernelINS1_24wrapped_transform_configINS0_14default_configEaEEaPaS6_NS0_8identityIaEEEEvT1_mT2_T3_.num_named_barrier, 0
	.set _ZN7rocprim17ROCPRIM_304000_NS6detail16transform_kernelINS1_24wrapped_transform_configINS0_14default_configEaEEaPaS6_NS0_8identityIaEEEEvT1_mT2_T3_.private_seg_size, 0
	.set _ZN7rocprim17ROCPRIM_304000_NS6detail16transform_kernelINS1_24wrapped_transform_configINS0_14default_configEaEEaPaS6_NS0_8identityIaEEEEvT1_mT2_T3_.uses_vcc, 1
	.set _ZN7rocprim17ROCPRIM_304000_NS6detail16transform_kernelINS1_24wrapped_transform_configINS0_14default_configEaEEaPaS6_NS0_8identityIaEEEEvT1_mT2_T3_.uses_flat_scratch, 0
	.set _ZN7rocprim17ROCPRIM_304000_NS6detail16transform_kernelINS1_24wrapped_transform_configINS0_14default_configEaEEaPaS6_NS0_8identityIaEEEEvT1_mT2_T3_.has_dyn_sized_stack, 0
	.set _ZN7rocprim17ROCPRIM_304000_NS6detail16transform_kernelINS1_24wrapped_transform_configINS0_14default_configEaEEaPaS6_NS0_8identityIaEEEEvT1_mT2_T3_.has_recursion, 0
	.set _ZN7rocprim17ROCPRIM_304000_NS6detail16transform_kernelINS1_24wrapped_transform_configINS0_14default_configEaEEaPaS6_NS0_8identityIaEEEEvT1_mT2_T3_.has_indirect_call, 0
	.section	.AMDGPU.csdata,"",@progbits
; Kernel info:
; codeLenInByte = 1196
; TotalNumSgprs: 27
; NumVgprs: 19
; NumAgprs: 0
; TotalNumVgprs: 19
; ScratchSize: 0
; MemoryBound: 0
; FloatMode: 240
; IeeeMode: 1
; LDSByteSize: 0 bytes/workgroup (compile time only)
; SGPRBlocks: 3
; VGPRBlocks: 2
; NumSGPRsForWavesPerEU: 27
; NumVGPRsForWavesPerEU: 19
; AccumOffset: 20
; Occupancy: 8
; WaveLimiterHint : 1
; COMPUTE_PGM_RSRC2:SCRATCH_EN: 0
; COMPUTE_PGM_RSRC2:USER_SGPR: 2
; COMPUTE_PGM_RSRC2:TRAP_HANDLER: 0
; COMPUTE_PGM_RSRC2:TGID_X_EN: 1
; COMPUTE_PGM_RSRC2:TGID_Y_EN: 0
; COMPUTE_PGM_RSRC2:TGID_Z_EN: 0
; COMPUTE_PGM_RSRC2:TIDIG_COMP_CNT: 0
; COMPUTE_PGM_RSRC3_GFX90A:ACCUM_OFFSET: 4
; COMPUTE_PGM_RSRC3_GFX90A:TG_SPLIT: 0
	.section	.text._ZN7rocprim17ROCPRIM_304000_NS6detail18single_scan_kernelILb0ENS1_19wrapped_scan_configINS0_14default_configEaEEPKaPaSt4plusIaEaaEEvT1_mT4_T2_T3_,"axG",@progbits,_ZN7rocprim17ROCPRIM_304000_NS6detail18single_scan_kernelILb0ENS1_19wrapped_scan_configINS0_14default_configEaEEPKaPaSt4plusIaEaaEEvT1_mT4_T2_T3_,comdat
	.protected	_ZN7rocprim17ROCPRIM_304000_NS6detail18single_scan_kernelILb0ENS1_19wrapped_scan_configINS0_14default_configEaEEPKaPaSt4plusIaEaaEEvT1_mT4_T2_T3_ ; -- Begin function _ZN7rocprim17ROCPRIM_304000_NS6detail18single_scan_kernelILb0ENS1_19wrapped_scan_configINS0_14default_configEaEEPKaPaSt4plusIaEaaEEvT1_mT4_T2_T3_
	.globl	_ZN7rocprim17ROCPRIM_304000_NS6detail18single_scan_kernelILb0ENS1_19wrapped_scan_configINS0_14default_configEaEEPKaPaSt4plusIaEaaEEvT1_mT4_T2_T3_
	.p2align	8
	.type	_ZN7rocprim17ROCPRIM_304000_NS6detail18single_scan_kernelILb0ENS1_19wrapped_scan_configINS0_14default_configEaEEPKaPaSt4plusIaEaaEEvT1_mT4_T2_T3_,@function
_ZN7rocprim17ROCPRIM_304000_NS6detail18single_scan_kernelILb0ENS1_19wrapped_scan_configINS0_14default_configEaEEPKaPaSt4plusIaEaaEEvT1_mT4_T2_T3_: ; @_ZN7rocprim17ROCPRIM_304000_NS6detail18single_scan_kernelILb0ENS1_19wrapped_scan_configINS0_14default_configEaEEPKaPaSt4plusIaEaaEEvT1_mT4_T2_T3_
; %bb.0:
	s_load_dwordx4 s[48:51], s[0:1], 0x0
	v_mov_b32_e32 v1, 0
	s_waitcnt lgkmcnt(0)
	global_load_ubyte v10, v1, s[48:49]
	v_lshl_add_u64 v[8:9], s[48:49], 0, v[0:1]
	v_cmp_gt_u32_e64 s[10:11], s50, v0
	s_waitcnt vmcnt(0)
	v_readfirstlane_b32 s2, v10
	s_lshl_b32 s3, s2, 8
	s_or_b32 s2, s2, s3
	s_and_b32 s3, s2, 0xffff
	s_lshl_b32 s2, s2, 16
	s_or_b32 s4, s3, s2
	s_mov_b32 s5, s4
	s_mov_b32 s6, s4
	;; [unrolled: 1-line block ×5, first 2 shown]
	v_mov_b64_e32 v[2:3], s[4:5]
	v_mov_b64_e32 v[4:5], s[6:7]
	;; [unrolled: 1-line block ×3, first 2 shown]
	s_and_saveexec_b64 s[2:3], s[10:11]
	s_cbranch_execz .LBB18_2
; %bb.1:
	global_load_ubyte v10, v[8:9], off
	v_mov_b32_e32 v2, 0x3020104
	v_mov_b32_e32 v3, s4
	;; [unrolled: 1-line block ×6, first 2 shown]
	s_waitcnt vmcnt(0)
	v_perm_b32 v2, v10, s4, v2
.LBB18_2:
	s_or_b64 exec, exec, s[2:3]
	v_or_b32_e32 v11, 0x100, v0
	v_cmp_gt_u32_e64 s[2:3], s50, v11
	s_and_saveexec_b64 s[4:5], s[2:3]
	s_cbranch_execz .LBB18_4
; %bb.3:
	global_load_ubyte v11, v[8:9], off offset:256
	s_mov_b32 s6, 0x7060004
	s_waitcnt vmcnt(0)
	v_perm_b32 v2, v2, v11, s6
.LBB18_4:
	s_or_b64 exec, exec, s[4:5]
	v_or_b32_e32 v11, 0x200, v0
	v_cmp_gt_u32_e64 s[4:5], s50, v11
	s_and_saveexec_b64 s[6:7], s[4:5]
	s_cbranch_execz .LBB18_6
; %bb.5:
	global_load_ubyte v11, v[8:9], off offset:512
	s_mov_b32 s8, 0x7000504
	s_waitcnt vmcnt(0)
	v_perm_b32 v2, v2, v11, s8
.LBB18_6:
	;; [unrolled: 11-line block ×15, first 2 shown]
	s_or_b64 exec, exec, s[36:37]
	v_or_b32_e32 v11, 0x1000, v0
	v_cmp_gt_u32_e64 s[36:37], s50, v11
	s_and_saveexec_b64 s[38:39], s[36:37]
	s_cbranch_execz .LBB18_34
; %bb.33:
	v_add_co_u32_e32 v12, vcc, 0x1000, v8
	s_mov_b32 s33, 0x3020104
	s_nop 0
	v_addc_co_u32_e32 v13, vcc, 0, v9, vcc
	global_load_ubyte v11, v[12:13], off
	s_waitcnt vmcnt(0)
	v_perm_b32 v6, v11, v6, s33
.LBB18_34:
	s_or_b64 exec, exec, s[38:39]
	v_or_b32_e32 v11, 0x1100, v0
	v_cmp_gt_u32_e64 s[38:39], s50, v11
	s_and_saveexec_b64 s[40:41], s[38:39]
	s_cbranch_execz .LBB18_36
; %bb.35:
	v_add_co_u32_e32 v12, vcc, 0x1000, v8
	s_mov_b32 s33, 0x7060004
	s_nop 0
	v_addc_co_u32_e32 v13, vcc, 0, v9, vcc
	global_load_ubyte v11, v[12:13], off offset:256
	s_waitcnt vmcnt(0)
	v_perm_b32 v6, v6, v11, s33
.LBB18_36:
	s_or_b64 exec, exec, s[40:41]
	v_or_b32_e32 v11, 0x1200, v0
	v_cmp_gt_u32_e64 s[40:41], s50, v11
	s_and_saveexec_b64 s[42:43], s[40:41]
	s_cbranch_execz .LBB18_38
; %bb.37:
	v_add_co_u32_e32 v12, vcc, 0x1000, v8
	s_mov_b32 s33, 0x7000504
	s_nop 0
	v_addc_co_u32_e32 v13, vcc, 0, v9, vcc
	global_load_ubyte v11, v[12:13], off offset:512
	s_waitcnt vmcnt(0)
	v_perm_b32 v6, v6, v11, s33
.LBB18_38:
	;; [unrolled: 14-line block ×7, first 2 shown]
	s_or_b64 exec, exec, s[52:53]
	v_lshrrev_b32_e32 v8, 8, v2
	ds_write_b8 v0, v10
	ds_write_b8 v0, v8 offset:256
	ds_write_b8_d16_hi v0, v2 offset:512
	v_lshrrev_b32_e32 v2, 24, v2
	ds_write_b8 v0, v2 offset:768
	ds_write_b8 v0, v3 offset:1024
	v_lshrrev_b32_e32 v2, 8, v3
	ds_write_b8 v0, v2 offset:1280
	ds_write_b8_d16_hi v0, v3 offset:1536
	v_lshrrev_b32_e32 v2, 24, v3
	ds_write_b8 v0, v2 offset:1792
	ds_write_b8 v0, v4 offset:2048
	v_lshrrev_b32_e32 v2, 8, v4
	;; [unrolled: 6-line block ×5, first 2 shown]
	ds_write_b8 v0, v2 offset:5376
	ds_write_b8_d16_hi v0, v7 offset:5632
	v_lshrrev_b32_e32 v2, 24, v7
	v_mad_u32_u24 v6, v0, 23, v0
	ds_write_b8 v0, v2 offset:5888
	s_waitcnt lgkmcnt(0)
	s_barrier
	ds_read2_b64 v[2:5], v6 offset1:1
	ds_read_b64 v[6:7], v6 offset:16
	s_waitcnt lgkmcnt(0)
	s_barrier
	v_lshrrev_b32_e32 v13, 8, v2
	v_add_u16_e32 v14, v13, v2
	v_add_u16_sdwa v14, v14, v2 dst_sel:DWORD dst_unused:UNUSED_PAD src0_sel:DWORD src1_sel:WORD_1
	v_add_u16_sdwa v14, v14, v2 dst_sel:DWORD dst_unused:UNUSED_PAD src0_sel:DWORD src1_sel:BYTE_3
	v_lshrrev_b32_e32 v12, 8, v3
	v_add_u16_e32 v14, v14, v3
	v_add_u16_e32 v14, v14, v12
	v_add_u16_sdwa v14, v14, v3 dst_sel:DWORD dst_unused:UNUSED_PAD src0_sel:DWORD src1_sel:WORD_1
	v_add_u16_sdwa v14, v14, v3 dst_sel:DWORD dst_unused:UNUSED_PAD src0_sel:DWORD src1_sel:BYTE_3
	v_lshrrev_b32_e32 v11, 8, v4
	v_add_u16_e32 v14, v14, v4
	v_add_u16_e32 v14, v14, v11
	v_add_u16_sdwa v14, v14, v4 dst_sel:DWORD dst_unused:UNUSED_PAD src0_sel:DWORD src1_sel:WORD_1
	v_add_u16_sdwa v14, v14, v4 dst_sel:DWORD dst_unused:UNUSED_PAD src0_sel:DWORD src1_sel:BYTE_3
	v_lshrrev_b32_e32 v10, 8, v5
	v_add_u16_e32 v14, v14, v5
	v_add_u16_e32 v14, v14, v10
	v_add_u16_sdwa v14, v14, v5 dst_sel:DWORD dst_unused:UNUSED_PAD src0_sel:DWORD src1_sel:WORD_1
	v_add_u16_sdwa v14, v14, v5 dst_sel:DWORD dst_unused:UNUSED_PAD src0_sel:DWORD src1_sel:BYTE_3
	v_lshrrev_b32_e32 v9, 8, v6
	v_add_u16_e32 v14, v14, v6
	v_add_u16_e32 v14, v14, v9
	v_add_u16_sdwa v14, v14, v6 dst_sel:DWORD dst_unused:UNUSED_PAD src0_sel:DWORD src1_sel:WORD_1
	v_add_u16_sdwa v14, v14, v6 dst_sel:DWORD dst_unused:UNUSED_PAD src0_sel:DWORD src1_sel:BYTE_3
	v_lshrrev_b32_e32 v8, 8, v7
	v_add_u16_e32 v14, v14, v7
	v_add_u16_e32 v14, v14, v8
	v_add_u16_sdwa v14, v14, v7 dst_sel:DWORD dst_unused:UNUSED_PAD src0_sel:DWORD src1_sel:WORD_1
	v_add_u16_sdwa v15, v14, v7 dst_sel:DWORD dst_unused:UNUSED_PAD src0_sel:DWORD src1_sel:BYTE_3
	v_mbcnt_lo_u32_b32 v14, -1, 0
	v_mbcnt_hi_u32_b32 v14, -1, v14
	v_and_b32_e32 v16, 15, v14
	v_and_b32_e32 v17, 0xff, v15
	v_cmp_ne_u32_e32 vcc, 0, v16
	s_nop 0
	v_mov_b32_dpp v17, v17 row_shr:1 row_mask:0xf bank_mask:0xf
	v_cndmask_b32_e32 v17, 0, v17, vcc
	v_add_u16_e32 v15, v17, v15
	v_and_b32_e32 v17, 0xff, v15
	v_cmp_lt_u32_e32 vcc, 1, v16
	s_nop 0
	v_mov_b32_dpp v17, v17 row_shr:2 row_mask:0xf bank_mask:0xf
	v_cndmask_b32_e32 v17, 0, v17, vcc
	v_add_u16_e32 v15, v15, v17
	v_and_b32_e32 v17, 0xff, v15
	v_cmp_lt_u32_e32 vcc, 3, v16
	;; [unrolled: 6-line block ×3, first 2 shown]
	s_nop 0
	v_mov_b32_dpp v17, v17 row_shr:8 row_mask:0xf bank_mask:0xf
	v_cndmask_b32_e32 v16, 0, v17, vcc
	v_add_u16_e32 v15, v15, v16
	v_and_b32_e32 v16, 0xff, v15
	v_and_b32_e32 v17, 16, v14
	v_cmp_ne_u32_e32 vcc, 0, v17
	v_mov_b32_dpp v16, v16 row_bcast:15 row_mask:0xf bank_mask:0xf
	v_lshrrev_b32_e32 v17, 6, v0
	v_cndmask_b32_e32 v16, 0, v16, vcc
	v_add_u16_e32 v15, v15, v16
	v_and_b32_e32 v16, 0xff, v15
	v_cmp_lt_u32_e32 vcc, 31, v14
	s_nop 0
	v_mov_b32_dpp v16, v16 row_bcast:31 row_mask:0xf bank_mask:0xf
	v_cndmask_b32_e32 v16, 0, v16, vcc
	v_add_u16_e32 v15, v15, v16
	v_or_b32_e32 v16, 63, v0
	v_cmp_eq_u32_e32 vcc, v0, v16
	s_and_saveexec_b64 s[52:53], vcc
; %bb.49:
	ds_write_b8 v17, v15
; %bb.50:
	s_or_b64 exec, exec, s[52:53]
	v_cmp_gt_u32_e32 vcc, 4, v0
	s_waitcnt lgkmcnt(0)
	s_barrier
	s_and_saveexec_b64 s[52:53], vcc
	s_cbranch_execz .LBB18_52
; %bb.51:
	ds_read_u8 v16, v0
	v_and_b32_e32 v18, 3, v14
	v_cmp_ne_u32_e32 vcc, 0, v18
	s_waitcnt lgkmcnt(0)
	v_and_b32_e32 v19, 0xff, v16
	s_nop 1
	v_mov_b32_dpp v19, v19 row_shr:1 row_mask:0xf bank_mask:0xf
	v_cndmask_b32_e32 v19, 0, v19, vcc
	v_add_u16_e32 v16, v19, v16
	v_and_b32_e32 v19, 0xff, v16
	v_cmp_lt_u32_e32 vcc, 1, v18
	s_nop 0
	v_mov_b32_dpp v19, v19 row_shr:2 row_mask:0xf bank_mask:0xf
	v_cndmask_b32_e32 v18, 0, v19, vcc
	v_add_u16_e32 v16, v16, v18
	ds_write_b8 v0, v16
.LBB18_52:
	s_or_b64 exec, exec, s[52:53]
	v_mul_u32_u24_e32 v16, 23, v0
	v_cmp_lt_u32_e32 vcc, 63, v0
	s_waitcnt lgkmcnt(0)
	s_barrier
                                        ; implicit-def: $vgpr18
	s_and_saveexec_b64 s[52:53], vcc
	s_cbranch_execz .LBB18_54
; %bb.53:
	v_add_u32_e32 v17, -1, v17
	ds_read_u8 v18, v17
	s_waitcnt lgkmcnt(0)
	v_add_u16_e32 v15, v18, v15
.LBB18_54:
	s_or_b64 exec, exec, s[52:53]
	v_subrev_co_u32_e32 v17, vcc, 1, v14
	v_and_b32_e32 v19, 64, v14
	v_cmp_lt_i32_e64 s[52:53], v17, v19
	v_and_b32_e32 v15, 0xff, v15
	s_movk_i32 s33, 0xff
	v_cndmask_b32_e64 v14, v17, v14, s[52:53]
	v_lshlrev_b32_e32 v14, 2, v14
	ds_bpermute_b32 v14, v14, v15
	v_add_u32_e32 v16, v0, v16
	s_waitcnt lgkmcnt(0)
	s_barrier
	v_cndmask_b32_e32 v14, v14, v18, vcc
	v_cmp_ne_u32_e32 vcc, 0, v0
	s_load_dwordx2 s[0:1], s[0:1], 0x18
	s_nop 0
	v_cndmask_b32_e32 v14, 0, v14, vcc
	v_add_u16_e32 v14, v14, v2
	v_add_u16_e32 v13, v14, v13
	v_add_u16_sdwa v15, v13, v2 dst_sel:DWORD dst_unused:UNUSED_PAD src0_sel:DWORD src1_sel:WORD_1
	v_add_u16_sdwa v2, v15, v2 dst_sel:DWORD dst_unused:UNUSED_PAD src0_sel:DWORD src1_sel:BYTE_3
	v_add_u16_e32 v17, v2, v3
	v_add_u16_e32 v12, v17, v12
	v_add_u16_sdwa v18, v12, v3 dst_sel:DWORD dst_unused:UNUSED_PAD src0_sel:DWORD src1_sel:WORD_1
	v_add_u16_sdwa v3, v18, v3 dst_sel:DWORD dst_unused:UNUSED_PAD src0_sel:DWORD src1_sel:BYTE_3
	;; [unrolled: 4-line block ×4, first 2 shown]
	v_add_u16_e32 v23, v5, v6
	v_add_u16_e32 v9, v23, v9
	v_lshlrev_b16_e32 v2, 8, v2
	v_lshlrev_b16_e32 v3, 8, v3
	;; [unrolled: 1-line block ×4, first 2 shown]
	v_add_u16_sdwa v24, v9, v6 dst_sel:DWORD dst_unused:UNUSED_PAD src0_sel:DWORD src1_sel:WORD_1
	v_lshlrev_b16_e32 v13, 8, v13
	v_bitop3_b16 v2, v15, v2, s33 bitop3:0xec
	v_lshlrev_b16_e32 v12, 8, v12
	v_bitop3_b16 v3, v18, v3, s33 bitop3:0xec
	;; [unrolled: 2-line block ×4, first 2 shown]
	v_add_u16_sdwa v6, v24, v6 dst_sel:DWORD dst_unused:UNUSED_PAD src0_sel:DWORD src1_sel:BYTE_3
	v_bitop3_b16 v13, v14, v13, s33 bitop3:0xec
	v_lshlrev_b32_e32 v2, 16, v2
	v_bitop3_b16 v12, v17, v12, s33 bitop3:0xec
	v_lshlrev_b32_e32 v3, 16, v3
	;; [unrolled: 2-line block ×4, first 2 shown]
	v_add_u16_e32 v25, v6, v7
	v_or_b32_sdwa v2, v13, v2 dst_sel:DWORD dst_unused:UNUSED_PAD src0_sel:WORD_0 src1_sel:DWORD
	v_or_b32_sdwa v3, v12, v3 dst_sel:DWORD dst_unused:UNUSED_PAD src0_sel:WORD_0 src1_sel:DWORD
	;; [unrolled: 1-line block ×4, first 2 shown]
	v_add_u16_e32 v8, v25, v8
	ds_write2_b64 v16, v[2:3], v[4:5] offset1:1
	v_lshlrev_b16_e32 v3, 8, v6
	v_add_u16_sdwa v26, v8, v7 dst_sel:DWORD dst_unused:UNUSED_PAD src0_sel:DWORD src1_sel:WORD_1
	v_lshlrev_b16_e32 v2, 8, v9
	v_bitop3_b16 v3, v24, v3, s33 bitop3:0xec
	v_add_u16_sdwa v7, v26, v7 dst_sel:BYTE_1 dst_unused:UNUSED_PAD src0_sel:DWORD src1_sel:BYTE_3
	v_bitop3_b16 v2, v23, v2, s33 bitop3:0xec
	v_lshlrev_b32_e32 v3, 16, v3
	v_or_b32_sdwa v2, v2, v3 dst_sel:DWORD dst_unused:UNUSED_PAD src0_sel:WORD_0 src1_sel:DWORD
	v_lshlrev_b16_e32 v3, 8, v8
	v_bitop3_b16 v4, v26, v7, s33 bitop3:0xec
	v_bitop3_b16 v3, v25, v3, s33 bitop3:0xec
	v_lshlrev_b32_e32 v4, 16, v4
	v_or_b32_sdwa v3, v3, v4 dst_sel:DWORD dst_unused:UNUSED_PAD src0_sel:WORD_0 src1_sel:DWORD
	ds_write_b64 v16, v[2:3] offset:16
	s_waitcnt lgkmcnt(0)
	s_barrier
	ds_read_u8 v26, v0 offset:256
	ds_read_u8 v25, v0 offset:512
	;; [unrolled: 1-line block ×23, first 2 shown]
	v_lshl_add_u64 v[2:3], s[0:1], 0, v[0:1]
	s_and_saveexec_b64 s[0:1], s[10:11]
	s_cbranch_execnz .LBB18_79
; %bb.55:
	s_or_b64 exec, exec, s[0:1]
	s_and_saveexec_b64 s[0:1], s[2:3]
	s_cbranch_execnz .LBB18_80
.LBB18_56:
	s_or_b64 exec, exec, s[0:1]
	s_and_saveexec_b64 s[0:1], s[4:5]
	s_cbranch_execnz .LBB18_81
.LBB18_57:
	s_or_b64 exec, exec, s[0:1]
	s_and_saveexec_b64 s[0:1], s[6:7]
	s_cbranch_execnz .LBB18_82
.LBB18_58:
	s_or_b64 exec, exec, s[0:1]
	s_and_saveexec_b64 s[0:1], s[8:9]
	s_cbranch_execnz .LBB18_83
.LBB18_59:
	s_or_b64 exec, exec, s[0:1]
	s_and_saveexec_b64 s[0:1], s[12:13]
	s_cbranch_execnz .LBB18_84
.LBB18_60:
	s_or_b64 exec, exec, s[0:1]
	s_and_saveexec_b64 s[0:1], s[14:15]
	s_cbranch_execnz .LBB18_85
.LBB18_61:
	s_or_b64 exec, exec, s[0:1]
	s_and_saveexec_b64 s[0:1], s[16:17]
	s_cbranch_execnz .LBB18_86
.LBB18_62:
	s_or_b64 exec, exec, s[0:1]
	s_and_saveexec_b64 s[0:1], s[18:19]
	s_cbranch_execnz .LBB18_87
.LBB18_63:
	s_or_b64 exec, exec, s[0:1]
	s_and_saveexec_b64 s[0:1], s[20:21]
	s_cbranch_execnz .LBB18_88
.LBB18_64:
	s_or_b64 exec, exec, s[0:1]
	s_and_saveexec_b64 s[0:1], s[22:23]
	s_cbranch_execnz .LBB18_89
.LBB18_65:
	s_or_b64 exec, exec, s[0:1]
	s_and_saveexec_b64 s[0:1], s[24:25]
	s_cbranch_execnz .LBB18_90
.LBB18_66:
	s_or_b64 exec, exec, s[0:1]
	s_and_saveexec_b64 s[0:1], s[26:27]
	s_cbranch_execnz .LBB18_91
.LBB18_67:
	s_or_b64 exec, exec, s[0:1]
	s_and_saveexec_b64 s[0:1], s[28:29]
	s_cbranch_execnz .LBB18_92
.LBB18_68:
	s_or_b64 exec, exec, s[0:1]
	s_and_saveexec_b64 s[0:1], s[30:31]
	s_cbranch_execnz .LBB18_93
.LBB18_69:
	s_or_b64 exec, exec, s[0:1]
	s_and_saveexec_b64 s[0:1], s[34:35]
	s_cbranch_execnz .LBB18_94
.LBB18_70:
	s_or_b64 exec, exec, s[0:1]
	s_and_saveexec_b64 s[0:1], s[36:37]
	s_cbranch_execnz .LBB18_95
.LBB18_71:
	s_or_b64 exec, exec, s[0:1]
	s_and_saveexec_b64 s[0:1], s[38:39]
	s_cbranch_execnz .LBB18_96
.LBB18_72:
	s_or_b64 exec, exec, s[0:1]
	s_and_saveexec_b64 s[0:1], s[40:41]
	s_cbranch_execnz .LBB18_97
.LBB18_73:
	s_or_b64 exec, exec, s[0:1]
	s_and_saveexec_b64 s[0:1], s[42:43]
	s_cbranch_execnz .LBB18_98
.LBB18_74:
	s_or_b64 exec, exec, s[0:1]
	s_and_saveexec_b64 s[0:1], s[44:45]
	s_cbranch_execnz .LBB18_99
.LBB18_75:
	s_or_b64 exec, exec, s[0:1]
	s_and_saveexec_b64 s[0:1], s[46:47]
	s_cbranch_execnz .LBB18_100
.LBB18_76:
	s_or_b64 exec, exec, s[0:1]
	s_and_saveexec_b64 s[0:1], s[48:49]
	s_cbranch_execnz .LBB18_101
.LBB18_77:
	s_or_b64 exec, exec, s[0:1]
	s_and_saveexec_b64 s[0:1], s[50:51]
	s_cbranch_execnz .LBB18_102
.LBB18_78:
	s_endpgm
.LBB18_79:
	ds_read_u8 v0, v0
	s_waitcnt lgkmcnt(0)
	global_store_byte v[2:3], v0, off
	s_or_b64 exec, exec, s[0:1]
	s_and_saveexec_b64 s[0:1], s[2:3]
	s_cbranch_execz .LBB18_56
.LBB18_80:
	s_waitcnt lgkmcnt(14)
	global_store_byte v[2:3], v26, off offset:256
	s_or_b64 exec, exec, s[0:1]
	s_and_saveexec_b64 s[0:1], s[4:5]
	s_cbranch_execz .LBB18_57
.LBB18_81:
	s_waitcnt lgkmcnt(14)
	global_store_byte v[2:3], v25, off offset:512
	s_or_b64 exec, exec, s[0:1]
	s_and_saveexec_b64 s[0:1], s[6:7]
	s_cbranch_execz .LBB18_58
.LBB18_82:
	s_waitcnt lgkmcnt(14)
	global_store_byte v[2:3], v24, off offset:768
	s_or_b64 exec, exec, s[0:1]
	s_and_saveexec_b64 s[0:1], s[8:9]
	s_cbranch_execz .LBB18_59
.LBB18_83:
	s_waitcnt lgkmcnt(14)
	global_store_byte v[2:3], v23, off offset:1024
	s_or_b64 exec, exec, s[0:1]
	s_and_saveexec_b64 s[0:1], s[12:13]
	s_cbranch_execz .LBB18_60
.LBB18_84:
	s_waitcnt lgkmcnt(14)
	global_store_byte v[2:3], v22, off offset:1280
	s_or_b64 exec, exec, s[0:1]
	s_and_saveexec_b64 s[0:1], s[14:15]
	s_cbranch_execz .LBB18_61
.LBB18_85:
	s_waitcnt lgkmcnt(14)
	global_store_byte v[2:3], v21, off offset:1536
	s_or_b64 exec, exec, s[0:1]
	s_and_saveexec_b64 s[0:1], s[16:17]
	s_cbranch_execz .LBB18_62
.LBB18_86:
	s_waitcnt lgkmcnt(14)
	global_store_byte v[2:3], v20, off offset:1792
	s_or_b64 exec, exec, s[0:1]
	s_and_saveexec_b64 s[0:1], s[18:19]
	s_cbranch_execz .LBB18_63
.LBB18_87:
	s_waitcnt lgkmcnt(14)
	global_store_byte v[2:3], v19, off offset:2048
	s_or_b64 exec, exec, s[0:1]
	s_and_saveexec_b64 s[0:1], s[20:21]
	s_cbranch_execz .LBB18_64
.LBB18_88:
	s_waitcnt lgkmcnt(14)
	global_store_byte v[2:3], v18, off offset:2304
	s_or_b64 exec, exec, s[0:1]
	s_and_saveexec_b64 s[0:1], s[22:23]
	s_cbranch_execz .LBB18_65
.LBB18_89:
	s_waitcnt lgkmcnt(13)
	global_store_byte v[2:3], v17, off offset:2560
	s_or_b64 exec, exec, s[0:1]
	s_and_saveexec_b64 s[0:1], s[24:25]
	s_cbranch_execz .LBB18_66
.LBB18_90:
	s_waitcnt lgkmcnt(12)
	global_store_byte v[2:3], v16, off offset:2816
	s_or_b64 exec, exec, s[0:1]
	s_and_saveexec_b64 s[0:1], s[26:27]
	s_cbranch_execz .LBB18_67
.LBB18_91:
	s_waitcnt lgkmcnt(11)
	global_store_byte v[2:3], v15, off offset:3072
	s_or_b64 exec, exec, s[0:1]
	s_and_saveexec_b64 s[0:1], s[28:29]
	s_cbranch_execz .LBB18_68
.LBB18_92:
	s_waitcnt lgkmcnt(10)
	global_store_byte v[2:3], v14, off offset:3328
	s_or_b64 exec, exec, s[0:1]
	s_and_saveexec_b64 s[0:1], s[30:31]
	s_cbranch_execz .LBB18_69
.LBB18_93:
	s_waitcnt lgkmcnt(9)
	global_store_byte v[2:3], v13, off offset:3584
	s_or_b64 exec, exec, s[0:1]
	s_and_saveexec_b64 s[0:1], s[34:35]
	s_cbranch_execz .LBB18_70
.LBB18_94:
	s_waitcnt lgkmcnt(8)
	global_store_byte v[2:3], v12, off offset:3840
	s_or_b64 exec, exec, s[0:1]
	s_and_saveexec_b64 s[0:1], s[36:37]
	s_cbranch_execz .LBB18_71
.LBB18_95:
	v_add_co_u32_e32 v0, vcc, 0x1000, v2
	s_nop 1
	v_addc_co_u32_e32 v1, vcc, 0, v3, vcc
	s_waitcnt lgkmcnt(7)
	global_store_byte v[0:1], v11, off
	s_or_b64 exec, exec, s[0:1]
	s_and_saveexec_b64 s[0:1], s[38:39]
	s_cbranch_execz .LBB18_72
.LBB18_96:
	v_add_co_u32_e32 v0, vcc, 0x1000, v2
	s_nop 1
	v_addc_co_u32_e32 v1, vcc, 0, v3, vcc
	s_waitcnt lgkmcnt(6)
	global_store_byte v[0:1], v10, off offset:256
	s_or_b64 exec, exec, s[0:1]
	s_and_saveexec_b64 s[0:1], s[40:41]
	s_cbranch_execz .LBB18_73
.LBB18_97:
	v_add_co_u32_e32 v0, vcc, 0x1000, v2
	s_nop 1
	v_addc_co_u32_e32 v1, vcc, 0, v3, vcc
	s_waitcnt lgkmcnt(5)
	global_store_byte v[0:1], v9, off offset:512
	s_or_b64 exec, exec, s[0:1]
	s_and_saveexec_b64 s[0:1], s[42:43]
	s_cbranch_execz .LBB18_74
.LBB18_98:
	v_add_co_u32_e32 v0, vcc, 0x1000, v2
	s_nop 1
	v_addc_co_u32_e32 v1, vcc, 0, v3, vcc
	s_waitcnt lgkmcnt(4)
	global_store_byte v[0:1], v8, off offset:768
	s_or_b64 exec, exec, s[0:1]
	s_and_saveexec_b64 s[0:1], s[44:45]
	s_cbranch_execz .LBB18_75
.LBB18_99:
	v_add_co_u32_e32 v0, vcc, 0x1000, v2
	s_nop 1
	v_addc_co_u32_e32 v1, vcc, 0, v3, vcc
	s_waitcnt lgkmcnt(3)
	global_store_byte v[0:1], v7, off offset:1024
	s_or_b64 exec, exec, s[0:1]
	s_and_saveexec_b64 s[0:1], s[46:47]
	s_cbranch_execz .LBB18_76
.LBB18_100:
	v_add_co_u32_e32 v0, vcc, 0x1000, v2
	s_nop 1
	v_addc_co_u32_e32 v1, vcc, 0, v3, vcc
	s_waitcnt lgkmcnt(2)
	global_store_byte v[0:1], v6, off offset:1280
	s_or_b64 exec, exec, s[0:1]
	s_and_saveexec_b64 s[0:1], s[48:49]
	s_cbranch_execz .LBB18_77
.LBB18_101:
	v_add_co_u32_e32 v0, vcc, 0x1000, v2
	s_nop 1
	v_addc_co_u32_e32 v1, vcc, 0, v3, vcc
	s_waitcnt lgkmcnt(1)
	global_store_byte v[0:1], v5, off offset:1536
	s_or_b64 exec, exec, s[0:1]
	s_and_saveexec_b64 s[0:1], s[50:51]
	s_cbranch_execz .LBB18_78
.LBB18_102:
	v_add_co_u32_e32 v0, vcc, 0x1000, v2
	s_nop 1
	v_addc_co_u32_e32 v1, vcc, 0, v3, vcc
	s_waitcnt lgkmcnt(0)
	global_store_byte v[0:1], v4, off offset:1792
	s_endpgm
	.section	.rodata,"a",@progbits
	.p2align	6, 0x0
	.amdhsa_kernel _ZN7rocprim17ROCPRIM_304000_NS6detail18single_scan_kernelILb0ENS1_19wrapped_scan_configINS0_14default_configEaEEPKaPaSt4plusIaEaaEEvT1_mT4_T2_T3_
		.amdhsa_group_segment_fixed_size 6144
		.amdhsa_private_segment_fixed_size 0
		.amdhsa_kernarg_size 36
		.amdhsa_user_sgpr_count 2
		.amdhsa_user_sgpr_dispatch_ptr 0
		.amdhsa_user_sgpr_queue_ptr 0
		.amdhsa_user_sgpr_kernarg_segment_ptr 1
		.amdhsa_user_sgpr_dispatch_id 0
		.amdhsa_user_sgpr_kernarg_preload_length 0
		.amdhsa_user_sgpr_kernarg_preload_offset 0
		.amdhsa_user_sgpr_private_segment_size 0
		.amdhsa_uses_dynamic_stack 0
		.amdhsa_enable_private_segment 0
		.amdhsa_system_sgpr_workgroup_id_x 1
		.amdhsa_system_sgpr_workgroup_id_y 0
		.amdhsa_system_sgpr_workgroup_id_z 0
		.amdhsa_system_sgpr_workgroup_info 0
		.amdhsa_system_vgpr_workitem_id 0
		.amdhsa_next_free_vgpr 27
		.amdhsa_next_free_sgpr 54
		.amdhsa_accum_offset 28
		.amdhsa_reserve_vcc 1
		.amdhsa_float_round_mode_32 0
		.amdhsa_float_round_mode_16_64 0
		.amdhsa_float_denorm_mode_32 3
		.amdhsa_float_denorm_mode_16_64 3
		.amdhsa_dx10_clamp 1
		.amdhsa_ieee_mode 1
		.amdhsa_fp16_overflow 0
		.amdhsa_tg_split 0
		.amdhsa_exception_fp_ieee_invalid_op 0
		.amdhsa_exception_fp_denorm_src 0
		.amdhsa_exception_fp_ieee_div_zero 0
		.amdhsa_exception_fp_ieee_overflow 0
		.amdhsa_exception_fp_ieee_underflow 0
		.amdhsa_exception_fp_ieee_inexact 0
		.amdhsa_exception_int_div_zero 0
	.end_amdhsa_kernel
	.section	.text._ZN7rocprim17ROCPRIM_304000_NS6detail18single_scan_kernelILb0ENS1_19wrapped_scan_configINS0_14default_configEaEEPKaPaSt4plusIaEaaEEvT1_mT4_T2_T3_,"axG",@progbits,_ZN7rocprim17ROCPRIM_304000_NS6detail18single_scan_kernelILb0ENS1_19wrapped_scan_configINS0_14default_configEaEEPKaPaSt4plusIaEaaEEvT1_mT4_T2_T3_,comdat
.Lfunc_end18:
	.size	_ZN7rocprim17ROCPRIM_304000_NS6detail18single_scan_kernelILb0ENS1_19wrapped_scan_configINS0_14default_configEaEEPKaPaSt4plusIaEaaEEvT1_mT4_T2_T3_, .Lfunc_end18-_ZN7rocprim17ROCPRIM_304000_NS6detail18single_scan_kernelILb0ENS1_19wrapped_scan_configINS0_14default_configEaEEPKaPaSt4plusIaEaaEEvT1_mT4_T2_T3_
                                        ; -- End function
	.set _ZN7rocprim17ROCPRIM_304000_NS6detail18single_scan_kernelILb0ENS1_19wrapped_scan_configINS0_14default_configEaEEPKaPaSt4plusIaEaaEEvT1_mT4_T2_T3_.num_vgpr, 27
	.set _ZN7rocprim17ROCPRIM_304000_NS6detail18single_scan_kernelILb0ENS1_19wrapped_scan_configINS0_14default_configEaEEPKaPaSt4plusIaEaaEEvT1_mT4_T2_T3_.num_agpr, 0
	.set _ZN7rocprim17ROCPRIM_304000_NS6detail18single_scan_kernelILb0ENS1_19wrapped_scan_configINS0_14default_configEaEEPKaPaSt4plusIaEaaEEvT1_mT4_T2_T3_.numbered_sgpr, 54
	.set _ZN7rocprim17ROCPRIM_304000_NS6detail18single_scan_kernelILb0ENS1_19wrapped_scan_configINS0_14default_configEaEEPKaPaSt4plusIaEaaEEvT1_mT4_T2_T3_.num_named_barrier, 0
	.set _ZN7rocprim17ROCPRIM_304000_NS6detail18single_scan_kernelILb0ENS1_19wrapped_scan_configINS0_14default_configEaEEPKaPaSt4plusIaEaaEEvT1_mT4_T2_T3_.private_seg_size, 0
	.set _ZN7rocprim17ROCPRIM_304000_NS6detail18single_scan_kernelILb0ENS1_19wrapped_scan_configINS0_14default_configEaEEPKaPaSt4plusIaEaaEEvT1_mT4_T2_T3_.uses_vcc, 1
	.set _ZN7rocprim17ROCPRIM_304000_NS6detail18single_scan_kernelILb0ENS1_19wrapped_scan_configINS0_14default_configEaEEPKaPaSt4plusIaEaaEEvT1_mT4_T2_T3_.uses_flat_scratch, 0
	.set _ZN7rocprim17ROCPRIM_304000_NS6detail18single_scan_kernelILb0ENS1_19wrapped_scan_configINS0_14default_configEaEEPKaPaSt4plusIaEaaEEvT1_mT4_T2_T3_.has_dyn_sized_stack, 0
	.set _ZN7rocprim17ROCPRIM_304000_NS6detail18single_scan_kernelILb0ENS1_19wrapped_scan_configINS0_14default_configEaEEPKaPaSt4plusIaEaaEEvT1_mT4_T2_T3_.has_recursion, 0
	.set _ZN7rocprim17ROCPRIM_304000_NS6detail18single_scan_kernelILb0ENS1_19wrapped_scan_configINS0_14default_configEaEEPKaPaSt4plusIaEaaEEvT1_mT4_T2_T3_.has_indirect_call, 0
	.section	.AMDGPU.csdata,"",@progbits
; Kernel info:
; codeLenInByte = 4072
; TotalNumSgprs: 60
; NumVgprs: 27
; NumAgprs: 0
; TotalNumVgprs: 27
; ScratchSize: 0
; MemoryBound: 0
; FloatMode: 240
; IeeeMode: 1
; LDSByteSize: 6144 bytes/workgroup (compile time only)
; SGPRBlocks: 7
; VGPRBlocks: 3
; NumSGPRsForWavesPerEU: 60
; NumVGPRsForWavesPerEU: 27
; AccumOffset: 28
; Occupancy: 8
; WaveLimiterHint : 0
; COMPUTE_PGM_RSRC2:SCRATCH_EN: 0
; COMPUTE_PGM_RSRC2:USER_SGPR: 2
; COMPUTE_PGM_RSRC2:TRAP_HANDLER: 0
; COMPUTE_PGM_RSRC2:TGID_X_EN: 1
; COMPUTE_PGM_RSRC2:TGID_Y_EN: 0
; COMPUTE_PGM_RSRC2:TGID_Z_EN: 0
; COMPUTE_PGM_RSRC2:TIDIG_COMP_CNT: 0
; COMPUTE_PGM_RSRC3_GFX90A:ACCUM_OFFSET: 6
; COMPUTE_PGM_RSRC3_GFX90A:TG_SPLIT: 0
	.section	.text._ZN2at6native32tensor_kernel_scan_innermost_dimIaSt4plusIaEEEvPT_PKS4_jjjS4_T0_,"axG",@progbits,_ZN2at6native32tensor_kernel_scan_innermost_dimIaSt4plusIaEEEvPT_PKS4_jjjS4_T0_,comdat
	.protected	_ZN2at6native32tensor_kernel_scan_innermost_dimIaSt4plusIaEEEvPT_PKS4_jjjS4_T0_ ; -- Begin function _ZN2at6native32tensor_kernel_scan_innermost_dimIaSt4plusIaEEEvPT_PKS4_jjjS4_T0_
	.globl	_ZN2at6native32tensor_kernel_scan_innermost_dimIaSt4plusIaEEEvPT_PKS4_jjjS4_T0_
	.p2align	8
	.type	_ZN2at6native32tensor_kernel_scan_innermost_dimIaSt4plusIaEEEvPT_PKS4_jjjS4_T0_,@function
_ZN2at6native32tensor_kernel_scan_innermost_dimIaSt4plusIaEEEvPT_PKS4_jjjS4_T0_: ; @_ZN2at6native32tensor_kernel_scan_innermost_dimIaSt4plusIaEEEvPT_PKS4_jjjS4_T0_
; %bb.0:
	s_load_dwordx8 s[12:19], s[0:1], 0x0
	v_bfe_u32 v2, v0, 10, 10
	s_waitcnt lgkmcnt(0)
	s_lshl_b32 s3, 2, s18
	s_mul_hi_u32 s4, s16, s17
	v_mul_lo_u32 v1, s3, v2
	v_add_u32_e32 v18, 0, v1
	s_cmp_lg_u32 s4, 0
	s_mov_b64 s[4:5], -1
	s_cbranch_scc1 .LBB19_26
; %bb.1:
	s_load_dword s6, s[0:1], 0x2c
	s_add_u32 s4, s0, 32
	s_addc_u32 s5, s1, 0
	s_waitcnt lgkmcnt(0)
	s_lshr_b32 s6, s6, 16
	s_mul_i32 s24, s2, s6
	s_cmp_ge_u32 s24, s16
	s_cbranch_scc1 .LBB19_25
; %bb.2:
	s_load_dword s25, s[4:5], 0x0
	s_cmp_lg_u32 s17, 0
	s_cselect_b64 s[10:11], -1, 0
	v_and_b32_e32 v1, 0x3ff, v0
	v_lshl_add_u32 v3, 1, s18, v1
	v_cndmask_b32_e64 v4, 0, 1, s[10:11]
	v_cmp_eq_u32_e64 s[8:9], 0, v1
	v_add3_u32 v12, v18, s3, -1
	s_waitcnt lgkmcnt(0)
	s_mul_i32 s25, s25, s6
	s_add_i32 s26, s18, 1
	v_cmp_ne_u32_e64 s[4:5], 1, v4
	v_mov_b32_e32 v5, 0
	v_add_u32_e32 v13, v18, v1
	v_add_u32_e32 v14, v18, v3
	s_branch .LBB19_4
.LBB19_3:                               ;   in Loop: Header=BB19_4 Depth=1
	s_add_i32 s24, s24, s25
	s_cmp_ge_u32 s24, s16
	s_cbranch_scc1 .LBB19_25
.LBB19_4:                               ; =>This Loop Header: Depth=1
                                        ;     Child Loop BB19_7 Depth 2
                                        ;       Child Loop BB19_16 Depth 3
	s_and_b64 vcc, exec, s[4:5]
	s_cbranch_vccnz .LBB19_3
; %bb.5:                                ;   in Loop: Header=BB19_4 Depth=1
	v_add_u32_e32 v10, s24, v2
	v_mul_lo_u32 v4, v10, s17
	v_lshl_add_u64 v[6:7], s[14:15], 0, v[4:5]
	v_lshl_add_u64 v[8:9], s[12:13], 0, v[4:5]
	v_cmp_gt_u32_e32 vcc, s16, v10
	v_cmp_le_u32_e64 s[6:7], s16, v10
	s_mov_b32 s27, 0
	v_mov_b32_e32 v15, s19
	s_branch .LBB19_7
.LBB19_6:                               ;   in Loop: Header=BB19_7 Depth=2
	s_or_b64 exec, exec, s[20:21]
	ds_read_u8 v15, v12
	s_add_i32 s27, s27, s3
	s_cmp_ge_u32 s27, s17
	s_waitcnt lgkmcnt(0)
	s_barrier
	s_cbranch_scc1 .LBB19_3
.LBB19_7:                               ;   Parent Loop BB19_4 Depth=1
                                        ; =>  This Loop Header: Depth=2
                                        ;       Child Loop BB19_16 Depth 3
	v_add_u32_e32 v4, s27, v1
	v_add_u32_e32 v10, s27, v3
	s_and_saveexec_b64 s[20:21], vcc
	s_cbranch_execz .LBB19_14
; %bb.8:                                ;   in Loop: Header=BB19_7 Depth=2
	v_cmp_gt_u32_e64 s[10:11], s17, v4
	v_mov_b32_e32 v11, s19
	s_and_saveexec_b64 s[22:23], s[10:11]
	s_cbranch_execz .LBB19_10
; %bb.9:                                ;   in Loop: Header=BB19_7 Depth=2
	v_lshl_add_u64 v[16:17], v[6:7], 0, v[4:5]
	global_load_ubyte v11, v[16:17], off
.LBB19_10:                              ;   in Loop: Header=BB19_7 Depth=2
	s_or_b64 exec, exec, s[22:23]
	s_waitcnt vmcnt(0)
	ds_write_b8 v13, v11
	v_cmp_gt_u32_e64 s[10:11], s17, v10
	v_mov_b32_e32 v11, s19
	s_and_saveexec_b64 s[22:23], s[10:11]
	s_cbranch_execz .LBB19_12
; %bb.11:                               ;   in Loop: Header=BB19_7 Depth=2
	v_mov_b32_e32 v11, v5
	v_lshl_add_u64 v[16:17], v[6:7], 0, v[10:11]
	global_load_ubyte v11, v[16:17], off
.LBB19_12:                              ;   in Loop: Header=BB19_7 Depth=2
	s_or_b64 exec, exec, s[22:23]
	s_waitcnt vmcnt(0)
	ds_write_b8 v14, v11
	s_and_b64 exec, exec, s[8:9]
	s_cbranch_execz .LBB19_14
; %bb.13:                               ;   in Loop: Header=BB19_7 Depth=2
	ds_read_u8 v11, v18
	s_waitcnt lgkmcnt(0)
	v_add_u16_e32 v11, v11, v15
	ds_write_b8 v18, v11
.LBB19_14:                              ;   in Loop: Header=BB19_7 Depth=2
	s_or_b64 exec, exec, s[20:21]
	v_mov_b32_e32 v11, 0
	s_mov_b64 s[20:21], 0
	s_waitcnt lgkmcnt(0)
	s_barrier
	s_branch .LBB19_16
.LBB19_15:                              ;   in Loop: Header=BB19_16 Depth=3
	s_or_b64 exec, exec, s[10:11]
	v_cmp_eq_u32_e64 s[10:11], s26, v11
	s_or_b64 s[20:21], s[10:11], s[20:21]
	s_waitcnt lgkmcnt(0)
	s_barrier
	s_andn2_b64 exec, exec, s[20:21]
	s_cbranch_execz .LBB19_20
.LBB19_16:                              ;   Parent Loop BB19_4 Depth=1
                                        ;     Parent Loop BB19_7 Depth=2
                                        ; =>    This Inner Loop Header: Depth=3
	v_add_u32_e32 v15, 1, v11
	s_and_saveexec_b64 s[10:11], s[6:7]
	s_xor_b64 s[10:11], exec, s[10:11]
; %bb.17:                               ;   in Loop: Header=BB19_16 Depth=3
	v_add_u32_e32 v11, 1, v11
                                        ; implicit-def: $vgpr15
; %bb.18:                               ;   in Loop: Header=BB19_16 Depth=3
	s_andn2_saveexec_b64 s[10:11], s[10:11]
	s_cbranch_execz .LBB19_15
; %bb.19:                               ;   in Loop: Header=BB19_16 Depth=3
	v_lshlrev_b32_e64 v16, v11, 1
	v_lshrrev_b32_e32 v17, v11, v1
	v_lshl_or_b32 v16, v17, v15, v16
	v_bfm_b32 v11, v11, 0
	v_and_b32_e32 v11, v11, v1
	v_add_u32_e32 v16, v18, v16
	v_add_u32_e32 v11, v16, v11
	v_add_u32_e32 v16, -1, v16
	ds_read_u8 v17, v11
	ds_read_u8 v16, v16
	s_waitcnt lgkmcnt(0)
	v_add_u16_e32 v16, v16, v17
	ds_write_b8 v11, v16
	v_mov_b32_e32 v11, v15
	s_branch .LBB19_15
.LBB19_20:                              ;   in Loop: Header=BB19_7 Depth=2
	s_or_b64 exec, exec, s[20:21]
	s_and_saveexec_b64 s[20:21], vcc
	s_cbranch_execz .LBB19_6
; %bb.21:                               ;   in Loop: Header=BB19_7 Depth=2
	v_cmp_gt_u32_e64 s[10:11], s17, v4
	s_and_saveexec_b64 s[22:23], s[10:11]
	s_cbranch_execz .LBB19_23
; %bb.22:                               ;   in Loop: Header=BB19_7 Depth=2
	ds_read_u8 v11, v13
	v_lshl_add_u64 v[16:17], v[8:9], 0, v[4:5]
	s_waitcnt lgkmcnt(0)
	global_store_byte v[16:17], v11, off
.LBB19_23:                              ;   in Loop: Header=BB19_7 Depth=2
	s_or_b64 exec, exec, s[22:23]
	v_cmp_gt_u32_e64 s[10:11], s17, v10
	s_and_b64 exec, exec, s[10:11]
	s_cbranch_execz .LBB19_6
; %bb.24:                               ;   in Loop: Header=BB19_7 Depth=2
	ds_read_u8 v4, v14
	v_mov_b32_e32 v11, v5
	v_lshl_add_u64 v[10:11], v[8:9], 0, v[10:11]
	s_waitcnt lgkmcnt(0)
	global_store_byte v[10:11], v4, off
	s_branch .LBB19_6
.LBB19_25:
	s_mov_b64 s[4:5], 0
.LBB19_26:
	s_andn2_b64 vcc, exec, s[4:5]
	s_cbranch_vccnz .LBB19_53
; %bb.27:
	s_load_dword s3, s[0:1], 0x2c
	s_add_u32 s0, s0, 32
	s_mov_b32 s9, 0
	s_addc_u32 s1, s1, 0
	s_mov_b32 s8, s16
	s_waitcnt lgkmcnt(0)
	s_lshr_b32 s3, s3, 16
	s_mul_hi_u32 s11, s3, s2
	s_mul_i32 s10, s3, s2
	v_mov_b64_e32 v[4:5], s[8:9]
	v_cmp_ge_u64_e32 vcc, s[10:11], v[4:5]
	s_cbranch_vccnz .LBB19_53
; %bb.28:
	s_lshl_b32 s20, 1, s18
	s_load_dword s5, s[0:1], 0x0
	s_and_b32 s4, 0xffff, s3
	s_ashr_i32 s21, s20, 31
	s_cmp_lg_u32 s17, 0
	s_cselect_b64 s[2:3], -1, 0
	v_mov_b32_e32 v3, 0
	s_mov_b32 s22, s17
	v_and_b32_e32 v0, 0x3ff, v0
	v_add_u32_e32 v6, s20, v18
	s_lshl_b64 s[16:17], s[20:21], 1
	v_cndmask_b32_e64 v4, 0, 1, s[2:3]
	s_mov_b32 s23, s9
	v_mov_b32_e32 v1, v3
	v_cmp_eq_u32_e64 s[0:1], 0, v0
	v_add3_u32 v19, v18, s16, -1
	s_waitcnt lgkmcnt(0)
	s_mul_i32 s33, s5, s4
	s_add_i32 s18, s18, 1
	v_cmp_ne_u32_e64 s[2:3], 1, v4
	v_mov_b64_e32 v[4:5], s[8:9]
	v_add_u32_e32 v20, v18, v0
	v_add_u32_e32 v21, v6, v0
	s_branch .LBB19_30
.LBB19_29:                              ;   in Loop: Header=BB19_30 Depth=1
	s_add_u32 s10, s10, s33
	s_addc_u32 s11, s11, 0
	v_cmp_ge_u64_e32 vcc, s[10:11], v[4:5]
	s_cbranch_vccnz .LBB19_53
.LBB19_30:                              ; =>This Loop Header: Depth=1
                                        ;     Child Loop BB19_33 Depth 2
                                        ;       Child Loop BB19_43 Depth 3
	s_and_b64 vcc, exec, s[2:3]
	s_cbranch_vccnz .LBB19_29
; %bb.31:                               ;   in Loop: Header=BB19_30 Depth=1
	v_lshl_add_u64 v[10:11], s[10:11], 0, v[2:3]
	v_mov_b64_e32 v[6:7], s[14:15]
	v_mov_b64_e32 v[8:9], s[12:13]
	v_mad_u64_u32 v[6:7], s[4:5], v10, s22, v[6:7]
	v_mul_lo_u32 v12, v11, s22
	v_mad_u64_u32 v[8:9], s[4:5], v10, s22, v[8:9]
	v_add_u32_e32 v7, v12, v7
	v_add_u32_e32 v9, v12, v9
	v_cmp_gt_u64_e64 s[4:5], s[8:9], v[10:11]
	v_cmp_le_u64_e64 s[6:7], s[8:9], v[10:11]
	s_mov_b64 s[24:25], 0
	v_mov_b32_e32 v14, s19
	s_branch .LBB19_33
.LBB19_32:                              ;   in Loop: Header=BB19_33 Depth=2
	s_or_b64 exec, exec, s[26:27]
	ds_read_u8 v14, v19
	s_add_u32 s24, s24, s16
	s_addc_u32 s25, s25, s17
	v_mov_b64_e32 v[10:11], s[22:23]
	v_cmp_ge_u64_e32 vcc, s[24:25], v[10:11]
	s_waitcnt lgkmcnt(0)
	s_barrier
	s_cbranch_vccnz .LBB19_29
.LBB19_33:                              ;   Parent Loop BB19_30 Depth=1
                                        ; =>  This Loop Header: Depth=2
                                        ;       Child Loop BB19_43 Depth 3
	v_lshl_add_u64 v[12:13], s[24:25], 0, v[0:1]
	v_lshl_add_u64 v[10:11], v[12:13], 0, s[20:21]
	s_and_saveexec_b64 s[26:27], s[4:5]
	s_cbranch_execz .LBB19_40
; %bb.34:                               ;   in Loop: Header=BB19_33 Depth=2
	v_cmp_gt_u64_e32 vcc, s[22:23], v[12:13]
	v_mov_b32_e32 v15, s19
	s_and_saveexec_b64 s[28:29], vcc
	s_cbranch_execz .LBB19_36
; %bb.35:                               ;   in Loop: Header=BB19_33 Depth=2
	v_lshl_add_u64 v[16:17], v[6:7], 0, v[12:13]
	global_load_ubyte v15, v[16:17], off
.LBB19_36:                              ;   in Loop: Header=BB19_33 Depth=2
	s_or_b64 exec, exec, s[28:29]
	s_waitcnt vmcnt(0)
	ds_write_b8 v20, v15
	v_cmp_gt_u64_e32 vcc, s[22:23], v[10:11]
	v_mov_b32_e32 v15, s19
	s_and_saveexec_b64 s[28:29], vcc
	s_cbranch_execz .LBB19_38
; %bb.37:                               ;   in Loop: Header=BB19_33 Depth=2
	v_lshl_add_u64 v[16:17], v[6:7], 0, v[10:11]
	global_load_ubyte v15, v[16:17], off
.LBB19_38:                              ;   in Loop: Header=BB19_33 Depth=2
	s_or_b64 exec, exec, s[28:29]
	s_waitcnt vmcnt(0)
	ds_write_b8 v21, v15
	s_and_b64 exec, exec, s[0:1]
	s_cbranch_execz .LBB19_40
; %bb.39:                               ;   in Loop: Header=BB19_33 Depth=2
	ds_read_u8 v15, v18
	s_waitcnt lgkmcnt(0)
	v_add_u16_e32 v14, v15, v14
	ds_write_b8 v18, v14
.LBB19_40:                              ;   in Loop: Header=BB19_33 Depth=2
	s_or_b64 exec, exec, s[26:27]
	v_mov_b32_e32 v23, 0
	s_mov_b64 s[26:27], 0
	s_waitcnt lgkmcnt(0)
	s_barrier
	s_branch .LBB19_43
.LBB19_41:                              ;   in Loop: Header=BB19_43 Depth=3
	s_or_b64 exec, exec, s[30:31]
	v_lshrrev_b32_e32 v15, v23, v0
	v_lshl_or_b32 v14, v15, v22, v14
	v_add_u32_e32 v14, v18, v14
	v_add_u32_e32 v15, v14, v16
	v_add_u32_e32 v14, -1, v14
	ds_read_u8 v16, v15
	ds_read_u8 v14, v14
	s_waitcnt lgkmcnt(0)
	v_add_u16_e32 v14, v14, v16
	ds_write_b8 v15, v14
.LBB19_42:                              ;   in Loop: Header=BB19_43 Depth=3
	s_or_b64 exec, exec, s[28:29]
	v_cmp_eq_u32_e32 vcc, s18, v22
	s_or_b64 s[26:27], vcc, s[26:27]
	v_mov_b32_e32 v23, v22
	s_waitcnt lgkmcnt(0)
	s_barrier
	s_andn2_b64 exec, exec, s[26:27]
	s_cbranch_execz .LBB19_48
.LBB19_43:                              ;   Parent Loop BB19_30 Depth=1
                                        ;     Parent Loop BB19_33 Depth=2
                                        ; =>    This Inner Loop Header: Depth=3
	v_add_u32_e32 v22, 1, v23
	s_and_saveexec_b64 s[28:29], s[6:7]
	s_xor_b64 s[28:29], exec, s[28:29]
; %bb.44:                               ;   in Loop: Header=BB19_43 Depth=3
	v_add_u32_e32 v22, 1, v23
                                        ; implicit-def: $vgpr23
; %bb.45:                               ;   in Loop: Header=BB19_43 Depth=3
	s_andn2_saveexec_b64 s[28:29], s[28:29]
	s_cbranch_execz .LBB19_42
; %bb.46:                               ;   in Loop: Header=BB19_43 Depth=3
	v_lshlrev_b32_e64 v14, v23, 1
	v_ashrrev_i32_e32 v15, 31, v14
	v_cmp_ge_u64_e32 vcc, v[0:1], v[14:15]
	v_mov_b64_e32 v[16:17], v[0:1]
	s_and_saveexec_b64 s[30:31], vcc
	s_cbranch_execz .LBB19_41
; %bb.47:                               ;   in Loop: Header=BB19_43 Depth=3
	v_cvt_f32_u32_e32 v15, v14
	v_sub_u32_e32 v16, 0, v14
	v_rcp_iflag_f32_e32 v15, v15
	s_nop 0
	v_mul_f32_e32 v15, 0x4f7ffffe, v15
	v_cvt_u32_f32_e32 v15, v15
	v_mul_lo_u32 v16, v16, v15
	v_mul_hi_u32 v16, v15, v16
	v_add_u32_e32 v15, v15, v16
	v_mul_hi_u32 v15, v0, v15
	v_mul_lo_u32 v15, v15, v14
	v_sub_u32_e32 v15, v0, v15
	v_sub_u32_e32 v16, v15, v14
	v_cmp_ge_u32_e32 vcc, v15, v14
	s_nop 1
	v_cndmask_b32_e32 v15, v15, v16, vcc
	v_sub_u32_e32 v16, v15, v14
	v_cmp_ge_u32_e32 vcc, v15, v14
	s_nop 1
	v_cndmask_b32_e32 v16, v15, v16, vcc
	s_branch .LBB19_41
.LBB19_48:                              ;   in Loop: Header=BB19_33 Depth=2
	s_or_b64 exec, exec, s[26:27]
	s_and_saveexec_b64 s[26:27], s[4:5]
	s_cbranch_execz .LBB19_32
; %bb.49:                               ;   in Loop: Header=BB19_33 Depth=2
	v_cmp_gt_u64_e32 vcc, s[22:23], v[12:13]
	s_and_saveexec_b64 s[28:29], vcc
	s_cbranch_execz .LBB19_51
; %bb.50:                               ;   in Loop: Header=BB19_33 Depth=2
	ds_read_u8 v14, v20
	v_lshl_add_u64 v[12:13], v[8:9], 0, v[12:13]
	s_waitcnt lgkmcnt(0)
	global_store_byte v[12:13], v14, off
.LBB19_51:                              ;   in Loop: Header=BB19_33 Depth=2
	s_or_b64 exec, exec, s[28:29]
	v_cmp_gt_u64_e32 vcc, s[22:23], v[10:11]
	s_and_b64 exec, exec, vcc
	s_cbranch_execz .LBB19_32
; %bb.52:                               ;   in Loop: Header=BB19_33 Depth=2
	ds_read_u8 v12, v21
	v_lshl_add_u64 v[10:11], v[8:9], 0, v[10:11]
	s_waitcnt lgkmcnt(0)
	global_store_byte v[10:11], v12, off
	s_branch .LBB19_32
.LBB19_53:
	s_endpgm
	.section	.rodata,"a",@progbits
	.p2align	6, 0x0
	.amdhsa_kernel _ZN2at6native32tensor_kernel_scan_innermost_dimIaSt4plusIaEEEvPT_PKS4_jjjS4_T0_
		.amdhsa_group_segment_fixed_size 0
		.amdhsa_private_segment_fixed_size 0
		.amdhsa_kernarg_size 288
		.amdhsa_user_sgpr_count 2
		.amdhsa_user_sgpr_dispatch_ptr 0
		.amdhsa_user_sgpr_queue_ptr 0
		.amdhsa_user_sgpr_kernarg_segment_ptr 1
		.amdhsa_user_sgpr_dispatch_id 0
		.amdhsa_user_sgpr_kernarg_preload_length 0
		.amdhsa_user_sgpr_kernarg_preload_offset 0
		.amdhsa_user_sgpr_private_segment_size 0
		.amdhsa_uses_dynamic_stack 0
		.amdhsa_enable_private_segment 0
		.amdhsa_system_sgpr_workgroup_id_x 1
		.amdhsa_system_sgpr_workgroup_id_y 0
		.amdhsa_system_sgpr_workgroup_id_z 0
		.amdhsa_system_sgpr_workgroup_info 0
		.amdhsa_system_vgpr_workitem_id 1
		.amdhsa_next_free_vgpr 24
		.amdhsa_next_free_sgpr 34
		.amdhsa_accum_offset 24
		.amdhsa_reserve_vcc 1
		.amdhsa_float_round_mode_32 0
		.amdhsa_float_round_mode_16_64 0
		.amdhsa_float_denorm_mode_32 3
		.amdhsa_float_denorm_mode_16_64 3
		.amdhsa_dx10_clamp 1
		.amdhsa_ieee_mode 1
		.amdhsa_fp16_overflow 0
		.amdhsa_tg_split 0
		.amdhsa_exception_fp_ieee_invalid_op 0
		.amdhsa_exception_fp_denorm_src 0
		.amdhsa_exception_fp_ieee_div_zero 0
		.amdhsa_exception_fp_ieee_overflow 0
		.amdhsa_exception_fp_ieee_underflow 0
		.amdhsa_exception_fp_ieee_inexact 0
		.amdhsa_exception_int_div_zero 0
	.end_amdhsa_kernel
	.section	.text._ZN2at6native32tensor_kernel_scan_innermost_dimIaSt4plusIaEEEvPT_PKS4_jjjS4_T0_,"axG",@progbits,_ZN2at6native32tensor_kernel_scan_innermost_dimIaSt4plusIaEEEvPT_PKS4_jjjS4_T0_,comdat
.Lfunc_end19:
	.size	_ZN2at6native32tensor_kernel_scan_innermost_dimIaSt4plusIaEEEvPT_PKS4_jjjS4_T0_, .Lfunc_end19-_ZN2at6native32tensor_kernel_scan_innermost_dimIaSt4plusIaEEEvPT_PKS4_jjjS4_T0_
                                        ; -- End function
	.set _ZN2at6native32tensor_kernel_scan_innermost_dimIaSt4plusIaEEEvPT_PKS4_jjjS4_T0_.num_vgpr, 24
	.set _ZN2at6native32tensor_kernel_scan_innermost_dimIaSt4plusIaEEEvPT_PKS4_jjjS4_T0_.num_agpr, 0
	.set _ZN2at6native32tensor_kernel_scan_innermost_dimIaSt4plusIaEEEvPT_PKS4_jjjS4_T0_.numbered_sgpr, 34
	.set _ZN2at6native32tensor_kernel_scan_innermost_dimIaSt4plusIaEEEvPT_PKS4_jjjS4_T0_.num_named_barrier, 0
	.set _ZN2at6native32tensor_kernel_scan_innermost_dimIaSt4plusIaEEEvPT_PKS4_jjjS4_T0_.private_seg_size, 0
	.set _ZN2at6native32tensor_kernel_scan_innermost_dimIaSt4plusIaEEEvPT_PKS4_jjjS4_T0_.uses_vcc, 1
	.set _ZN2at6native32tensor_kernel_scan_innermost_dimIaSt4plusIaEEEvPT_PKS4_jjjS4_T0_.uses_flat_scratch, 0
	.set _ZN2at6native32tensor_kernel_scan_innermost_dimIaSt4plusIaEEEvPT_PKS4_jjjS4_T0_.has_dyn_sized_stack, 0
	.set _ZN2at6native32tensor_kernel_scan_innermost_dimIaSt4plusIaEEEvPT_PKS4_jjjS4_T0_.has_recursion, 0
	.set _ZN2at6native32tensor_kernel_scan_innermost_dimIaSt4plusIaEEEvPT_PKS4_jjjS4_T0_.has_indirect_call, 0
	.section	.AMDGPU.csdata,"",@progbits
; Kernel info:
; codeLenInByte = 1572
; TotalNumSgprs: 40
; NumVgprs: 24
; NumAgprs: 0
; TotalNumVgprs: 24
; ScratchSize: 0
; MemoryBound: 0
; FloatMode: 240
; IeeeMode: 1
; LDSByteSize: 0 bytes/workgroup (compile time only)
; SGPRBlocks: 4
; VGPRBlocks: 2
; NumSGPRsForWavesPerEU: 40
; NumVGPRsForWavesPerEU: 24
; AccumOffset: 24
; Occupancy: 8
; WaveLimiterHint : 0
; COMPUTE_PGM_RSRC2:SCRATCH_EN: 0
; COMPUTE_PGM_RSRC2:USER_SGPR: 2
; COMPUTE_PGM_RSRC2:TRAP_HANDLER: 0
; COMPUTE_PGM_RSRC2:TGID_X_EN: 1
; COMPUTE_PGM_RSRC2:TGID_Y_EN: 0
; COMPUTE_PGM_RSRC2:TGID_Z_EN: 0
; COMPUTE_PGM_RSRC2:TIDIG_COMP_CNT: 1
; COMPUTE_PGM_RSRC3_GFX90A:ACCUM_OFFSET: 5
; COMPUTE_PGM_RSRC3_GFX90A:TG_SPLIT: 0
	.section	.text._ZN2at6native28tensor_kernel_scan_outer_dimIajSt4plusIaEEEvPT_PKS4_jjjS4_T1_,"axG",@progbits,_ZN2at6native28tensor_kernel_scan_outer_dimIajSt4plusIaEEEvPT_PKS4_jjjS4_T1_,comdat
	.protected	_ZN2at6native28tensor_kernel_scan_outer_dimIajSt4plusIaEEEvPT_PKS4_jjjS4_T1_ ; -- Begin function _ZN2at6native28tensor_kernel_scan_outer_dimIajSt4plusIaEEEvPT_PKS4_jjjS4_T1_
	.globl	_ZN2at6native28tensor_kernel_scan_outer_dimIajSt4plusIaEEEvPT_PKS4_jjjS4_T1_
	.p2align	8
	.type	_ZN2at6native28tensor_kernel_scan_outer_dimIajSt4plusIaEEEvPT_PKS4_jjjS4_T1_,@function
_ZN2at6native28tensor_kernel_scan_outer_dimIajSt4plusIaEEEvPT_PKS4_jjjS4_T1_: ; @_ZN2at6native28tensor_kernel_scan_outer_dimIajSt4plusIaEEEvPT_PKS4_jjjS4_T1_
; %bb.0:
	s_load_dwordx4 s[8:11], s[0:1], 0x10
	s_waitcnt lgkmcnt(0)
	s_cmp_ge_u32 s2, s8
	s_cbranch_scc1 .LBB20_9
; %bb.1:
	s_load_dword s4, s[0:1], 0x2c
	s_load_dwordx4 s[12:15], s[0:1], 0x0
	s_load_dword s24, s[0:1], 0x20
	s_add_u32 s6, s0, 32
	s_addc_u32 s7, s1, 0
	s_waitcnt lgkmcnt(0)
	s_and_b32 s25, s4, 0xffff
	s_mul_i32 s3, s3, s25
	s_cmp_lg_u32 s10, 0
	v_add_u32_e32 v4, s3, v0
	s_mul_i32 s3, s2, s10
	s_cselect_b64 s[4:5], -1, 0
	s_mov_b32 s17, 0
	s_mul_i32 s16, s3, s9
	s_mul_i32 s3, s24, s10
	v_cndmask_b32_e64 v0, 0, 1, s[4:5]
	v_cmp_gt_u32_e64 s[0:1], s9, v4
	s_mov_b32 s18, s9
	s_mov_b32 s19, s17
	s_mul_i32 s3, s3, s9
	v_cmp_ne_u32_e64 s[4:5], 1, v0
	v_mov_b32_e32 v1, 0
	s_branch .LBB20_3
.LBB20_2:                               ;   in Loop: Header=BB20_3 Depth=1
	s_or_b64 exec, exec, s[20:21]
	s_add_i32 s2, s24, s2
	s_add_i32 s16, s16, s3
	s_cmp_ge_u32 s2, s8
	s_cbranch_scc1 .LBB20_9
.LBB20_3:                               ; =>This Loop Header: Depth=1
                                        ;     Child Loop BB20_6 Depth 2
                                        ;       Child Loop BB20_8 Depth 3
	s_and_saveexec_b64 s[20:21], s[0:1]
	s_cbranch_execz .LBB20_2
; %bb.4:                                ;   in Loop: Header=BB20_3 Depth=1
	s_load_dword s26, s[6:7], 0x4
	s_mov_b64 s[22:23], 0
	v_mov_b32_e32 v0, v4
	s_waitcnt lgkmcnt(0)
	s_mul_i32 s26, s26, s25
	s_branch .LBB20_6
.LBB20_5:                               ;   in Loop: Header=BB20_6 Depth=2
	v_add_u32_e32 v0, s26, v0
	v_cmp_le_u32_e32 vcc, s9, v0
	s_or_b64 s[22:23], vcc, s[22:23]
	s_andn2_b64 exec, exec, s[22:23]
	s_cbranch_execz .LBB20_2
.LBB20_6:                               ;   Parent Loop BB20_3 Depth=1
                                        ; =>  This Loop Header: Depth=2
                                        ;       Child Loop BB20_8 Depth 3
	s_and_b64 vcc, exec, s[4:5]
	s_cbranch_vccnz .LBB20_5
; %bb.7:                                ;   in Loop: Header=BB20_6 Depth=2
	v_lshl_add_u64 v[2:3], s[16:17], 0, v[0:1]
	v_mov_b32_e32 v5, s11
	s_mov_b32 s27, s10
.LBB20_8:                               ;   Parent Loop BB20_3 Depth=1
                                        ;     Parent Loop BB20_6 Depth=2
                                        ; =>    This Inner Loop Header: Depth=3
	v_lshl_add_u64 v[6:7], s[14:15], 0, v[2:3]
	global_load_ubyte v8, v[6:7], off
	s_add_i32 s27, s27, -1
	v_lshl_add_u64 v[6:7], s[12:13], 0, v[2:3]
	v_lshl_add_u64 v[2:3], v[2:3], 0, s[18:19]
	s_cmp_eq_u32 s27, 0
	s_waitcnt vmcnt(0)
	v_add_u16_e32 v5, v8, v5
	global_store_byte v[6:7], v5, off
	s_cbranch_scc0 .LBB20_8
	s_branch .LBB20_5
.LBB20_9:
	s_endpgm
	.section	.rodata,"a",@progbits
	.p2align	6, 0x0
	.amdhsa_kernel _ZN2at6native28tensor_kernel_scan_outer_dimIajSt4plusIaEEEvPT_PKS4_jjjS4_T1_
		.amdhsa_group_segment_fixed_size 0
		.amdhsa_private_segment_fixed_size 0
		.amdhsa_kernarg_size 288
		.amdhsa_user_sgpr_count 2
		.amdhsa_user_sgpr_dispatch_ptr 0
		.amdhsa_user_sgpr_queue_ptr 0
		.amdhsa_user_sgpr_kernarg_segment_ptr 1
		.amdhsa_user_sgpr_dispatch_id 0
		.amdhsa_user_sgpr_kernarg_preload_length 0
		.amdhsa_user_sgpr_kernarg_preload_offset 0
		.amdhsa_user_sgpr_private_segment_size 0
		.amdhsa_uses_dynamic_stack 0
		.amdhsa_enable_private_segment 0
		.amdhsa_system_sgpr_workgroup_id_x 1
		.amdhsa_system_sgpr_workgroup_id_y 1
		.amdhsa_system_sgpr_workgroup_id_z 0
		.amdhsa_system_sgpr_workgroup_info 0
		.amdhsa_system_vgpr_workitem_id 0
		.amdhsa_next_free_vgpr 9
		.amdhsa_next_free_sgpr 28
		.amdhsa_accum_offset 12
		.amdhsa_reserve_vcc 1
		.amdhsa_float_round_mode_32 0
		.amdhsa_float_round_mode_16_64 0
		.amdhsa_float_denorm_mode_32 3
		.amdhsa_float_denorm_mode_16_64 3
		.amdhsa_dx10_clamp 1
		.amdhsa_ieee_mode 1
		.amdhsa_fp16_overflow 0
		.amdhsa_tg_split 0
		.amdhsa_exception_fp_ieee_invalid_op 0
		.amdhsa_exception_fp_denorm_src 0
		.amdhsa_exception_fp_ieee_div_zero 0
		.amdhsa_exception_fp_ieee_overflow 0
		.amdhsa_exception_fp_ieee_underflow 0
		.amdhsa_exception_fp_ieee_inexact 0
		.amdhsa_exception_int_div_zero 0
	.end_amdhsa_kernel
	.section	.text._ZN2at6native28tensor_kernel_scan_outer_dimIajSt4plusIaEEEvPT_PKS4_jjjS4_T1_,"axG",@progbits,_ZN2at6native28tensor_kernel_scan_outer_dimIajSt4plusIaEEEvPT_PKS4_jjjS4_T1_,comdat
.Lfunc_end20:
	.size	_ZN2at6native28tensor_kernel_scan_outer_dimIajSt4plusIaEEEvPT_PKS4_jjjS4_T1_, .Lfunc_end20-_ZN2at6native28tensor_kernel_scan_outer_dimIajSt4plusIaEEEvPT_PKS4_jjjS4_T1_
                                        ; -- End function
	.set _ZN2at6native28tensor_kernel_scan_outer_dimIajSt4plusIaEEEvPT_PKS4_jjjS4_T1_.num_vgpr, 9
	.set _ZN2at6native28tensor_kernel_scan_outer_dimIajSt4plusIaEEEvPT_PKS4_jjjS4_T1_.num_agpr, 0
	.set _ZN2at6native28tensor_kernel_scan_outer_dimIajSt4plusIaEEEvPT_PKS4_jjjS4_T1_.numbered_sgpr, 28
	.set _ZN2at6native28tensor_kernel_scan_outer_dimIajSt4plusIaEEEvPT_PKS4_jjjS4_T1_.num_named_barrier, 0
	.set _ZN2at6native28tensor_kernel_scan_outer_dimIajSt4plusIaEEEvPT_PKS4_jjjS4_T1_.private_seg_size, 0
	.set _ZN2at6native28tensor_kernel_scan_outer_dimIajSt4plusIaEEEvPT_PKS4_jjjS4_T1_.uses_vcc, 1
	.set _ZN2at6native28tensor_kernel_scan_outer_dimIajSt4plusIaEEEvPT_PKS4_jjjS4_T1_.uses_flat_scratch, 0
	.set _ZN2at6native28tensor_kernel_scan_outer_dimIajSt4plusIaEEEvPT_PKS4_jjjS4_T1_.has_dyn_sized_stack, 0
	.set _ZN2at6native28tensor_kernel_scan_outer_dimIajSt4plusIaEEEvPT_PKS4_jjjS4_T1_.has_recursion, 0
	.set _ZN2at6native28tensor_kernel_scan_outer_dimIajSt4plusIaEEEvPT_PKS4_jjjS4_T1_.has_indirect_call, 0
	.section	.AMDGPU.csdata,"",@progbits
; Kernel info:
; codeLenInByte = 308
; TotalNumSgprs: 34
; NumVgprs: 9
; NumAgprs: 0
; TotalNumVgprs: 9
; ScratchSize: 0
; MemoryBound: 0
; FloatMode: 240
; IeeeMode: 1
; LDSByteSize: 0 bytes/workgroup (compile time only)
; SGPRBlocks: 4
; VGPRBlocks: 1
; NumSGPRsForWavesPerEU: 34
; NumVGPRsForWavesPerEU: 9
; AccumOffset: 12
; Occupancy: 8
; WaveLimiterHint : 0
; COMPUTE_PGM_RSRC2:SCRATCH_EN: 0
; COMPUTE_PGM_RSRC2:USER_SGPR: 2
; COMPUTE_PGM_RSRC2:TRAP_HANDLER: 0
; COMPUTE_PGM_RSRC2:TGID_X_EN: 1
; COMPUTE_PGM_RSRC2:TGID_Y_EN: 1
; COMPUTE_PGM_RSRC2:TGID_Z_EN: 0
; COMPUTE_PGM_RSRC2:TIDIG_COMP_CNT: 0
; COMPUTE_PGM_RSRC3_GFX90A:ACCUM_OFFSET: 2
; COMPUTE_PGM_RSRC3_GFX90A:TG_SPLIT: 0
	.section	.text._ZN2at6native28tensor_kernel_scan_outer_dimIamSt4plusIaEEEvPT_PKS4_jjjS4_T1_,"axG",@progbits,_ZN2at6native28tensor_kernel_scan_outer_dimIamSt4plusIaEEEvPT_PKS4_jjjS4_T1_,comdat
	.protected	_ZN2at6native28tensor_kernel_scan_outer_dimIamSt4plusIaEEEvPT_PKS4_jjjS4_T1_ ; -- Begin function _ZN2at6native28tensor_kernel_scan_outer_dimIamSt4plusIaEEEvPT_PKS4_jjjS4_T1_
	.globl	_ZN2at6native28tensor_kernel_scan_outer_dimIamSt4plusIaEEEvPT_PKS4_jjjS4_T1_
	.p2align	8
	.type	_ZN2at6native28tensor_kernel_scan_outer_dimIamSt4plusIaEEEvPT_PKS4_jjjS4_T1_,@function
_ZN2at6native28tensor_kernel_scan_outer_dimIamSt4plusIaEEEvPT_PKS4_jjjS4_T1_: ; @_ZN2at6native28tensor_kernel_scan_outer_dimIamSt4plusIaEEEvPT_PKS4_jjjS4_T1_
; %bb.0:
	s_load_dwordx4 s[8:11], s[0:1], 0x10
	s_waitcnt lgkmcnt(0)
	s_cmp_ge_u32 s2, s8
	s_cbranch_scc1 .LBB21_9
; %bb.1:
	s_load_dword s4, s[0:1], 0x2c
	s_load_dwordx4 s[12:15], s[0:1], 0x0
	s_load_dword s24, s[0:1], 0x20
	s_add_u32 s6, s0, 32
	s_addc_u32 s7, s1, 0
	s_waitcnt lgkmcnt(0)
	s_and_b32 s25, s4, 0xffff
	s_cmp_lg_u32 s10, 0
	s_mul_i32 s3, s3, s25
	s_cselect_b64 s[4:5], -1, 0
	v_add_u32_e32 v4, s3, v0
	v_cndmask_b32_e64 v0, 0, 1, s[4:5]
	v_cmp_gt_u32_e64 s[0:1], s9, v4
	s_mov_b32 s17, 0
	s_mov_b32 s16, s9
	s_mul_hi_u32 s3, s10, s9
	s_mul_i32 s26, s10, s9
	v_cmp_ne_u32_e64 s[4:5], 1, v0
	v_mov_b32_e32 v1, 0
	s_branch .LBB21_3
.LBB21_2:                               ;   in Loop: Header=BB21_3 Depth=1
	s_or_b64 exec, exec, s[18:19]
	s_add_i32 s2, s2, s24
	s_cmp_ge_u32 s2, s8
	s_cbranch_scc1 .LBB21_9
.LBB21_3:                               ; =>This Loop Header: Depth=1
                                        ;     Child Loop BB21_6 Depth 2
                                        ;       Child Loop BB21_8 Depth 3
	s_and_saveexec_b64 s[18:19], s[0:1]
	s_cbranch_execz .LBB21_2
; %bb.4:                                ;   in Loop: Header=BB21_3 Depth=1
	s_load_dword s27, s[6:7], 0x4
	s_mul_i32 s21, s3, s2
	s_mul_hi_u32 s22, s26, s2
	s_mul_i32 s20, s26, s2
	s_add_i32 s21, s22, s21
	s_waitcnt lgkmcnt(0)
	s_mul_i32 s27, s27, s25
	s_mov_b64 s[22:23], 0
	v_mov_b32_e32 v0, v4
	s_branch .LBB21_6
.LBB21_5:                               ;   in Loop: Header=BB21_6 Depth=2
	v_add_u32_e32 v0, s27, v0
	v_cmp_le_u32_e32 vcc, s9, v0
	s_or_b64 s[22:23], vcc, s[22:23]
	s_andn2_b64 exec, exec, s[22:23]
	s_cbranch_execz .LBB21_2
.LBB21_6:                               ;   Parent Loop BB21_3 Depth=1
                                        ; =>  This Loop Header: Depth=2
                                        ;       Child Loop BB21_8 Depth 3
	s_and_b64 vcc, exec, s[4:5]
	s_cbranch_vccnz .LBB21_5
; %bb.7:                                ;   in Loop: Header=BB21_6 Depth=2
	v_lshl_add_u64 v[2:3], s[20:21], 0, v[0:1]
	v_mov_b32_e32 v5, s11
	s_mov_b32 s28, s10
.LBB21_8:                               ;   Parent Loop BB21_3 Depth=1
                                        ;     Parent Loop BB21_6 Depth=2
                                        ; =>    This Inner Loop Header: Depth=3
	v_lshl_add_u64 v[6:7], s[14:15], 0, v[2:3]
	global_load_ubyte v8, v[6:7], off
	s_add_i32 s28, s28, -1
	v_lshl_add_u64 v[6:7], s[12:13], 0, v[2:3]
	v_lshl_add_u64 v[2:3], v[2:3], 0, s[16:17]
	s_cmp_eq_u32 s28, 0
	s_waitcnt vmcnt(0)
	v_add_u16_e32 v5, v8, v5
	global_store_byte v[6:7], v5, off
	s_cbranch_scc0 .LBB21_8
	s_branch .LBB21_5
.LBB21_9:
	s_endpgm
	.section	.rodata,"a",@progbits
	.p2align	6, 0x0
	.amdhsa_kernel _ZN2at6native28tensor_kernel_scan_outer_dimIamSt4plusIaEEEvPT_PKS4_jjjS4_T1_
		.amdhsa_group_segment_fixed_size 0
		.amdhsa_private_segment_fixed_size 0
		.amdhsa_kernarg_size 288
		.amdhsa_user_sgpr_count 2
		.amdhsa_user_sgpr_dispatch_ptr 0
		.amdhsa_user_sgpr_queue_ptr 0
		.amdhsa_user_sgpr_kernarg_segment_ptr 1
		.amdhsa_user_sgpr_dispatch_id 0
		.amdhsa_user_sgpr_kernarg_preload_length 0
		.amdhsa_user_sgpr_kernarg_preload_offset 0
		.amdhsa_user_sgpr_private_segment_size 0
		.amdhsa_uses_dynamic_stack 0
		.amdhsa_enable_private_segment 0
		.amdhsa_system_sgpr_workgroup_id_x 1
		.amdhsa_system_sgpr_workgroup_id_y 1
		.amdhsa_system_sgpr_workgroup_id_z 0
		.amdhsa_system_sgpr_workgroup_info 0
		.amdhsa_system_vgpr_workitem_id 0
		.amdhsa_next_free_vgpr 9
		.amdhsa_next_free_sgpr 29
		.amdhsa_accum_offset 12
		.amdhsa_reserve_vcc 1
		.amdhsa_float_round_mode_32 0
		.amdhsa_float_round_mode_16_64 0
		.amdhsa_float_denorm_mode_32 3
		.amdhsa_float_denorm_mode_16_64 3
		.amdhsa_dx10_clamp 1
		.amdhsa_ieee_mode 1
		.amdhsa_fp16_overflow 0
		.amdhsa_tg_split 0
		.amdhsa_exception_fp_ieee_invalid_op 0
		.amdhsa_exception_fp_denorm_src 0
		.amdhsa_exception_fp_ieee_div_zero 0
		.amdhsa_exception_fp_ieee_overflow 0
		.amdhsa_exception_fp_ieee_underflow 0
		.amdhsa_exception_fp_ieee_inexact 0
		.amdhsa_exception_int_div_zero 0
	.end_amdhsa_kernel
	.section	.text._ZN2at6native28tensor_kernel_scan_outer_dimIamSt4plusIaEEEvPT_PKS4_jjjS4_T1_,"axG",@progbits,_ZN2at6native28tensor_kernel_scan_outer_dimIamSt4plusIaEEEvPT_PKS4_jjjS4_T1_,comdat
.Lfunc_end21:
	.size	_ZN2at6native28tensor_kernel_scan_outer_dimIamSt4plusIaEEEvPT_PKS4_jjjS4_T1_, .Lfunc_end21-_ZN2at6native28tensor_kernel_scan_outer_dimIamSt4plusIaEEEvPT_PKS4_jjjS4_T1_
                                        ; -- End function
	.set _ZN2at6native28tensor_kernel_scan_outer_dimIamSt4plusIaEEEvPT_PKS4_jjjS4_T1_.num_vgpr, 9
	.set _ZN2at6native28tensor_kernel_scan_outer_dimIamSt4plusIaEEEvPT_PKS4_jjjS4_T1_.num_agpr, 0
	.set _ZN2at6native28tensor_kernel_scan_outer_dimIamSt4plusIaEEEvPT_PKS4_jjjS4_T1_.numbered_sgpr, 29
	.set _ZN2at6native28tensor_kernel_scan_outer_dimIamSt4plusIaEEEvPT_PKS4_jjjS4_T1_.num_named_barrier, 0
	.set _ZN2at6native28tensor_kernel_scan_outer_dimIamSt4plusIaEEEvPT_PKS4_jjjS4_T1_.private_seg_size, 0
	.set _ZN2at6native28tensor_kernel_scan_outer_dimIamSt4plusIaEEEvPT_PKS4_jjjS4_T1_.uses_vcc, 1
	.set _ZN2at6native28tensor_kernel_scan_outer_dimIamSt4plusIaEEEvPT_PKS4_jjjS4_T1_.uses_flat_scratch, 0
	.set _ZN2at6native28tensor_kernel_scan_outer_dimIamSt4plusIaEEEvPT_PKS4_jjjS4_T1_.has_dyn_sized_stack, 0
	.set _ZN2at6native28tensor_kernel_scan_outer_dimIamSt4plusIaEEEvPT_PKS4_jjjS4_T1_.has_recursion, 0
	.set _ZN2at6native28tensor_kernel_scan_outer_dimIamSt4plusIaEEEvPT_PKS4_jjjS4_T1_.has_indirect_call, 0
	.section	.AMDGPU.csdata,"",@progbits
; Kernel info:
; codeLenInByte = 308
; TotalNumSgprs: 35
; NumVgprs: 9
; NumAgprs: 0
; TotalNumVgprs: 9
; ScratchSize: 0
; MemoryBound: 0
; FloatMode: 240
; IeeeMode: 1
; LDSByteSize: 0 bytes/workgroup (compile time only)
; SGPRBlocks: 4
; VGPRBlocks: 1
; NumSGPRsForWavesPerEU: 35
; NumVGPRsForWavesPerEU: 9
; AccumOffset: 12
; Occupancy: 8
; WaveLimiterHint : 0
; COMPUTE_PGM_RSRC2:SCRATCH_EN: 0
; COMPUTE_PGM_RSRC2:USER_SGPR: 2
; COMPUTE_PGM_RSRC2:TRAP_HANDLER: 0
; COMPUTE_PGM_RSRC2:TGID_X_EN: 1
; COMPUTE_PGM_RSRC2:TGID_Y_EN: 1
; COMPUTE_PGM_RSRC2:TGID_Z_EN: 0
; COMPUTE_PGM_RSRC2:TIDIG_COMP_CNT: 0
; COMPUTE_PGM_RSRC3_GFX90A:ACCUM_OFFSET: 2
; COMPUTE_PGM_RSRC3_GFX90A:TG_SPLIT: 0
	.section	.text._ZN2at4cuda3cub15calc_block_sumsILi512ELi16ELb0EiiEEvPKT2_PT3_li,"axG",@progbits,_ZN2at4cuda3cub15calc_block_sumsILi512ELi16ELb0EiiEEvPKT2_PT3_li,comdat
	.protected	_ZN2at4cuda3cub15calc_block_sumsILi512ELi16ELb0EiiEEvPKT2_PT3_li ; -- Begin function _ZN2at4cuda3cub15calc_block_sumsILi512ELi16ELb0EiiEEvPKT2_PT3_li
	.globl	_ZN2at4cuda3cub15calc_block_sumsILi512ELi16ELb0EiiEEvPKT2_PT3_li
	.p2align	8
	.type	_ZN2at4cuda3cub15calc_block_sumsILi512ELi16ELb0EiiEEvPKT2_PT3_li,@function
_ZN2at4cuda3cub15calc_block_sumsILi512ELi16ELb0EiiEEvPKT2_PT3_li: ; @_ZN2at4cuda3cub15calc_block_sumsILi512ELi16ELb0EiiEEvPKT2_PT3_li
; %bb.0:
	s_load_dword s14, s[0:1], 0x18
	s_load_dwordx2 s[4:5], s[0:1], 0x10
	s_waitcnt lgkmcnt(0)
	s_lshl_b32 s3, s14, 13
	s_ashr_i32 s6, s3, 31
	s_mul_hi_u32 s7, s3, s2
	s_mul_i32 s6, s6, s2
	s_add_i32 s13, s7, s6
	s_mul_i32 s12, s3, s2
	s_sub_u32 s8, s4, s12
	s_subb_u32 s9, s5, s13
	v_cmp_lt_i64_e64 s[4:5], s[8:9], 1
	s_and_b64 vcc, exec, s[4:5]
	s_cbranch_vccnz .LBB22_54
; %bb.1:
	s_load_dwordx4 s[4:7], s[0:1], 0x0
	s_mov_b32 s3, 0
	s_mov_b64 s[10:11], -1
	s_cmp_gt_i32 s14, 0
	s_mov_b64 s[0:1], -1
	s_cbranch_scc1 .LBB22_3
; %bb.2:
	s_mov_b64 s[0:1], 0
.LBB22_3:
	s_andn2_b64 vcc, exec, s[0:1]
	v_mov_b32_e32 v29, 0
	s_cbranch_vccnz .LBB22_52
; %bb.4:
	v_lshrrev_b32_e32 v2, 4, v0
	s_lshl_b64 s[10:11], s[12:13], 2
	v_and_b32_e32 v41, 60, v2
	v_mov_b32_e32 v2, 0
	s_waitcnt lgkmcnt(0)
	s_add_u32 s4, s4, s10
	v_lshlrev_b32_e32 v4, 2, v0
	v_mov_b32_e32 v5, v2
	s_addc_u32 s5, s5, s11
	v_mbcnt_lo_u32_b32 v3, -1, 0
	v_add_u32_e32 v1, 0x200, v0
	v_or_b32_e32 v26, 0x400, v0
	v_add_u32_e32 v27, 0x600, v0
	v_or_b32_e32 v28, 0x800, v0
	;; [unrolled: 2-line block ×7, first 2 shown]
	v_add_u32_e32 v40, 0x1e00, v0
	v_cmp_gt_u32_e64 s[0:1], 64, v0
	v_lshl_add_u64 v[24:25], s[4:5], 0, v[4:5]
	v_mov_b64_e32 v[20:21], 0x2000
	s_mov_b64 s[4:5], 0x8000
	v_mbcnt_hi_u32_b32 v42, -1, v3
	v_mov_b64_e32 v[22:23], 0x2001
	v_mov_b32_e32 v29, 0
	s_branch .LBB22_6
.LBB22_5:                               ;   in Loop: Header=BB22_6 Depth=1
	s_add_u32 s8, s8, 0xffffe000
	s_addc_u32 s9, s9, -1
	s_add_i32 s14, s14, -1
	s_cmp_eq_u32 s14, 0
	v_lshl_add_u64 v[24:25], v[24:25], 0, s[4:5]
	s_mov_b64 s[10:11], -1
	s_cselect_b64 s[12:13], -1, 0
	s_barrier
	s_andn2_b64 vcc, exec, s[12:13]
	v_add_u32_e32 v29, v3, v29
	s_cbranch_vccz .LBB22_52
.LBB22_6:                               ; =>This Inner Loop Header: Depth=1
	v_cmp_lt_i64_e32 vcc, s[8:9], v[20:21]
	s_mov_b64 s[10:11], -1
                                        ; implicit-def: $vgpr3
	s_cbranch_vccnz .LBB22_9
; %bb.7:                                ;   in Loop: Header=BB22_6 Depth=1
	s_and_b64 vcc, exec, s[10:11]
	s_cbranch_vccnz .LBB22_31
.LBB22_8:                               ;   in Loop: Header=BB22_6 Depth=1
	v_cmp_lt_i64_e32 vcc, s[8:9], v[22:23]
	s_cbranch_vccz .LBB22_5
	s_branch .LBB22_36
.LBB22_9:                               ;   in Loop: Header=BB22_6 Depth=1
	v_mov_b32_e32 v4, v2
	v_mov_b32_e32 v5, v2
	;; [unrolled: 1-line block ×15, first 2 shown]
	v_mov_b64_e32 v[18:19], v[16:17]
	v_cmp_gt_u32_e32 vcc, s8, v0
	v_mov_b64_e32 v[16:17], v[14:15]
	v_mov_b64_e32 v[14:15], v[12:13]
	;; [unrolled: 1-line block ×7, first 2 shown]
	s_and_saveexec_b64 s[10:11], vcc
	s_cbranch_execnz .LBB22_37
; %bb.10:                               ;   in Loop: Header=BB22_6 Depth=1
	s_or_b64 exec, exec, s[10:11]
	v_cmp_gt_u32_e32 vcc, s8, v1
	s_and_saveexec_b64 s[10:11], vcc
	s_cbranch_execnz .LBB22_38
.LBB22_11:                              ;   in Loop: Header=BB22_6 Depth=1
	s_or_b64 exec, exec, s[10:11]
	v_cmp_gt_u32_e32 vcc, s8, v26
	s_and_saveexec_b64 s[10:11], vcc
	s_cbranch_execnz .LBB22_39
.LBB22_12:                              ;   in Loop: Header=BB22_6 Depth=1
	s_or_b64 exec, exec, s[10:11]
	v_cmp_gt_u32_e32 vcc, s8, v27
	s_and_saveexec_b64 s[10:11], vcc
	s_cbranch_execnz .LBB22_40
.LBB22_13:                              ;   in Loop: Header=BB22_6 Depth=1
	s_or_b64 exec, exec, s[10:11]
	v_cmp_gt_u32_e32 vcc, s8, v28
	s_and_saveexec_b64 s[10:11], vcc
	s_cbranch_execnz .LBB22_41
.LBB22_14:                              ;   in Loop: Header=BB22_6 Depth=1
	s_or_b64 exec, exec, s[10:11]
	v_cmp_gt_u32_e32 vcc, s8, v30
	s_and_saveexec_b64 s[10:11], vcc
	s_cbranch_execnz .LBB22_42
.LBB22_15:                              ;   in Loop: Header=BB22_6 Depth=1
	s_or_b64 exec, exec, s[10:11]
	v_cmp_gt_u32_e32 vcc, s8, v31
	s_and_saveexec_b64 s[10:11], vcc
	s_cbranch_execnz .LBB22_43
.LBB22_16:                              ;   in Loop: Header=BB22_6 Depth=1
	s_or_b64 exec, exec, s[10:11]
	v_cmp_gt_u32_e32 vcc, s8, v32
	s_and_saveexec_b64 s[10:11], vcc
	s_cbranch_execnz .LBB22_44
.LBB22_17:                              ;   in Loop: Header=BB22_6 Depth=1
	s_or_b64 exec, exec, s[10:11]
	v_cmp_gt_u32_e32 vcc, s8, v33
	s_and_saveexec_b64 s[10:11], vcc
	s_cbranch_execnz .LBB22_45
.LBB22_18:                              ;   in Loop: Header=BB22_6 Depth=1
	s_or_b64 exec, exec, s[10:11]
	v_cmp_gt_u32_e32 vcc, s8, v34
	s_and_saveexec_b64 s[10:11], vcc
	s_cbranch_execnz .LBB22_46
.LBB22_19:                              ;   in Loop: Header=BB22_6 Depth=1
	s_or_b64 exec, exec, s[10:11]
	v_cmp_gt_u32_e32 vcc, s8, v35
	s_and_saveexec_b64 s[10:11], vcc
	s_cbranch_execnz .LBB22_47
.LBB22_20:                              ;   in Loop: Header=BB22_6 Depth=1
	s_or_b64 exec, exec, s[10:11]
	v_cmp_gt_u32_e32 vcc, s8, v36
	s_and_saveexec_b64 s[10:11], vcc
	s_cbranch_execnz .LBB22_48
.LBB22_21:                              ;   in Loop: Header=BB22_6 Depth=1
	s_or_b64 exec, exec, s[10:11]
	v_cmp_gt_u32_e32 vcc, s8, v37
	s_and_saveexec_b64 s[10:11], vcc
	s_cbranch_execnz .LBB22_49
.LBB22_22:                              ;   in Loop: Header=BB22_6 Depth=1
	s_or_b64 exec, exec, s[10:11]
	v_cmp_gt_u32_e32 vcc, s8, v38
	s_and_saveexec_b64 s[10:11], vcc
	s_cbranch_execnz .LBB22_50
.LBB22_23:                              ;   in Loop: Header=BB22_6 Depth=1
	s_or_b64 exec, exec, s[10:11]
	v_cmp_gt_u32_e32 vcc, s8, v39
	s_and_saveexec_b64 s[10:11], vcc
	s_cbranch_execnz .LBB22_51
.LBB22_24:                              ;   in Loop: Header=BB22_6 Depth=1
	s_or_b64 exec, exec, s[10:11]
	v_cmp_gt_u32_e32 vcc, s8, v40
	s_and_saveexec_b64 s[10:11], vcc
	s_cbranch_execz .LBB22_26
.LBB22_25:                              ;   in Loop: Header=BB22_6 Depth=1
	v_add_co_u32_e32 v44, vcc, 0x7000, v24
	s_nop 1
	v_addc_co_u32_e32 v45, vcc, 0, v25, vcc
	global_load_dword v19, v[44:45], off offset:2048
.LBB22_26:                              ;   in Loop: Header=BB22_6 Depth=1
	s_or_b64 exec, exec, s[10:11]
	s_waitcnt vmcnt(0)
	v_add_u32_e32 v3, v5, v4
	v_add3_u32 v3, v3, v6, v7
	v_add3_u32 v3, v3, v8, v9
	;; [unrolled: 1-line block ×7, first 2 shown]
	v_cmp_eq_u32_e32 vcc, 0, v42
	s_nop 0
	v_mov_b32_dpp v4, v3 quad_perm:[1,0,3,2] row_mask:0xf bank_mask:0xf
	v_add_u32_e32 v3, v3, v4
	s_barrier
	s_nop 0
	v_mov_b32_dpp v4, v3 quad_perm:[2,3,0,1] row_mask:0xf bank_mask:0xf
	v_add_u32_e32 v3, v3, v4
	s_nop 1
	v_mov_b32_dpp v4, v3 row_ror:4 row_mask:0xf bank_mask:0xf
	v_add_u32_e32 v3, v3, v4
	s_nop 1
	v_mov_b32_dpp v4, v3 row_ror:8 row_mask:0xf bank_mask:0xf
	v_add_u32_e32 v3, v3, v4
	s_nop 1
	v_mov_b32_dpp v4, v3 row_bcast:15 row_mask:0xf bank_mask:0xf
	v_add_u32_e32 v3, v3, v4
	s_nop 1
	v_mov_b32_dpp v4, v3 row_bcast:31 row_mask:0xf bank_mask:0xf
	v_add_u32_e32 v3, v3, v4
	v_lshlrev_b32_e32 v4, 2, v42
	v_or_b32_e32 v5, 0xfc, v4
	ds_bpermute_b32 v3, v5, v3
	s_and_saveexec_b64 s[10:11], vcc
	s_cbranch_execz .LBB22_28
; %bb.27:                               ;   in Loop: Header=BB22_6 Depth=1
	s_waitcnt lgkmcnt(0)
	ds_write_b32 v41, v3
.LBB22_28:                              ;   in Loop: Header=BB22_6 Depth=1
	s_or_b64 exec, exec, s[10:11]
	s_waitcnt lgkmcnt(0)
	s_barrier
	s_and_saveexec_b64 s[10:11], s[0:1]
	s_cbranch_execz .LBB22_30
; %bb.29:                               ;   in Loop: Header=BB22_6 Depth=1
	v_and_b32_e32 v3, 7, v42
	v_lshlrev_b32_e32 v5, 2, v3
	ds_read_b32 v5, v5
	v_cmp_ne_u32_e32 vcc, 7, v3
	v_or_b32_e32 v4, 16, v4
	s_nop 0
	v_addc_co_u32_e32 v6, vcc, 0, v42, vcc
	v_lshlrev_b32_e32 v6, 2, v6
	s_waitcnt lgkmcnt(0)
	ds_bpermute_b32 v6, v6, v5
	v_cmp_gt_u32_e32 vcc, 6, v3
	s_waitcnt lgkmcnt(0)
	v_add_u32_e32 v5, v6, v5
	v_cndmask_b32_e64 v3, 0, 2, vcc
	v_add_lshl_u32 v3, v3, v42, 2
	ds_bpermute_b32 v3, v3, v5
	s_waitcnt lgkmcnt(0)
	v_add_u32_e32 v3, v3, v5
	ds_bpermute_b32 v4, v4, v3
	s_waitcnt lgkmcnt(0)
	v_add_u32_e32 v3, v4, v3
.LBB22_30:                              ;   in Loop: Header=BB22_6 Depth=1
	s_or_b64 exec, exec, s[10:11]
	s_branch .LBB22_8
.LBB22_31:                              ;   in Loop: Header=BB22_6 Depth=1
	v_add_co_u32_e32 v4, vcc, 0x1000, v24
	global_load_dword v3, v[24:25], off
	global_load_dword v12, v[24:25], off offset:2048
	v_addc_co_u32_e32 v5, vcc, 0, v25, vcc
	v_add_co_u32_e32 v6, vcc, 0x2000, v24
	s_waitcnt vmcnt(0)
	v_add_u32_e32 v3, v12, v3
	v_addc_co_u32_e32 v7, vcc, 0, v25, vcc
	v_add_co_u32_e32 v8, vcc, 0x3000, v24
	s_nop 1
	v_addc_co_u32_e32 v9, vcc, 0, v25, vcc
	v_add_co_u32_e32 v10, vcc, 0x4000, v24
	s_nop 1
	v_addc_co_u32_e32 v11, vcc, 0, v25, vcc
	global_load_dword v13, v[4:5], off
	global_load_dword v14, v[4:5], off offset:2048
	global_load_dword v15, v[6:7], off
	global_load_dword v16, v[6:7], off offset:2048
	;; [unrolled: 2-line block ×4, first 2 shown]
	v_add_co_u32_e32 v4, vcc, 0x5000, v24
	s_waitcnt vmcnt(6)
	v_add3_u32 v3, v3, v13, v14
	v_addc_co_u32_e32 v5, vcc, 0, v25, vcc
	v_add_co_u32_e32 v6, vcc, 0x6000, v24
	s_waitcnt vmcnt(4)
	v_add3_u32 v3, v3, v15, v16
	v_addc_co_u32_e32 v7, vcc, 0, v25, vcc
	;; [unrolled: 4-line block ×3, first 2 shown]
	global_load_dword v10, v[4:5], off
	global_load_dword v11, v[4:5], off offset:2048
	global_load_dword v44, v[6:7], off
	global_load_dword v45, v[6:7], off offset:2048
	;; [unrolled: 2-line block ×3, first 2 shown]
	s_waitcnt vmcnt(6)
	v_add3_u32 v3, v3, v19, v43
	v_lshlrev_b32_e32 v4, 2, v42
	v_cmp_eq_u32_e32 vcc, 0, v42
	s_barrier
	s_waitcnt vmcnt(4)
	v_add3_u32 v3, v3, v10, v11
	s_waitcnt vmcnt(2)
	v_add3_u32 v3, v3, v44, v45
	s_waitcnt vmcnt(0)
	v_add3_u32 v3, v3, v46, v47
	s_nop 1
	v_mov_b32_dpp v5, v3 quad_perm:[1,0,3,2] row_mask:0xf bank_mask:0xf
	v_add_u32_e32 v3, v5, v3
	s_nop 1
	v_mov_b32_dpp v5, v3 quad_perm:[2,3,0,1] row_mask:0xf bank_mask:0xf
	v_add_u32_e32 v3, v3, v5
	s_nop 1
	v_mov_b32_dpp v5, v3 row_ror:4 row_mask:0xf bank_mask:0xf
	v_add_u32_e32 v3, v3, v5
	s_nop 1
	v_mov_b32_dpp v5, v3 row_ror:8 row_mask:0xf bank_mask:0xf
	v_add_u32_e32 v3, v3, v5
	s_nop 1
	v_mov_b32_dpp v5, v3 row_bcast:15 row_mask:0xf bank_mask:0xf
	v_add_u32_e32 v3, v3, v5
	s_nop 1
	v_mov_b32_dpp v5, v3 row_bcast:31 row_mask:0xf bank_mask:0xf
	v_add_u32_e32 v3, v3, v5
	v_or_b32_e32 v5, 0xfc, v4
	ds_bpermute_b32 v3, v5, v3
	s_and_saveexec_b64 s[10:11], vcc
	s_cbranch_execz .LBB22_33
; %bb.32:                               ;   in Loop: Header=BB22_6 Depth=1
	s_waitcnt lgkmcnt(0)
	ds_write_b32 v41, v3
.LBB22_33:                              ;   in Loop: Header=BB22_6 Depth=1
	s_or_b64 exec, exec, s[10:11]
	s_waitcnt lgkmcnt(0)
	s_barrier
	s_and_saveexec_b64 s[10:11], s[0:1]
	s_cbranch_execz .LBB22_35
; %bb.34:                               ;   in Loop: Header=BB22_6 Depth=1
	v_and_b32_e32 v3, 7, v42
	v_lshlrev_b32_e32 v5, 2, v3
	ds_read_b32 v5, v5
	v_cmp_ne_u32_e32 vcc, 7, v3
	v_or_b32_e32 v4, 16, v4
	s_nop 0
	v_addc_co_u32_e32 v6, vcc, 0, v42, vcc
	v_lshlrev_b32_e32 v6, 2, v6
	s_waitcnt lgkmcnt(0)
	ds_bpermute_b32 v6, v6, v5
	v_cmp_gt_u32_e32 vcc, 6, v3
	s_waitcnt lgkmcnt(0)
	v_add_u32_e32 v5, v6, v5
	v_cndmask_b32_e64 v3, 0, 2, vcc
	v_add_lshl_u32 v3, v3, v42, 2
	ds_bpermute_b32 v3, v3, v5
	s_waitcnt lgkmcnt(0)
	v_add_u32_e32 v3, v3, v5
	ds_bpermute_b32 v4, v4, v3
	s_waitcnt lgkmcnt(0)
	v_add_u32_e32 v3, v4, v3
.LBB22_35:                              ;   in Loop: Header=BB22_6 Depth=1
	s_or_b64 exec, exec, s[10:11]
	v_cmp_lt_i64_e32 vcc, s[8:9], v[22:23]
	s_cbranch_vccz .LBB22_5
.LBB22_36:
	s_mov_b64 s[10:11], 0
                                        ; implicit-def: $sgpr8_sgpr9
                                        ; implicit-def: $sgpr14
                                        ; implicit-def: $vgpr24_vgpr25
	v_add_u32_e32 v29, v3, v29
	s_branch .LBB22_52
.LBB22_37:                              ;   in Loop: Header=BB22_6 Depth=1
	global_load_dword v4, v[24:25], off
	v_mov_b32_e32 v5, v2
	v_mov_b32_e32 v6, v2
	;; [unrolled: 1-line block ×15, first 2 shown]
	s_or_b64 exec, exec, s[10:11]
	v_cmp_gt_u32_e32 vcc, s8, v1
	s_and_saveexec_b64 s[10:11], vcc
	s_cbranch_execz .LBB22_11
.LBB22_38:                              ;   in Loop: Header=BB22_6 Depth=1
	global_load_dword v5, v[24:25], off offset:2048
	s_or_b64 exec, exec, s[10:11]
	v_cmp_gt_u32_e32 vcc, s8, v26
	s_and_saveexec_b64 s[10:11], vcc
	s_cbranch_execz .LBB22_12
.LBB22_39:                              ;   in Loop: Header=BB22_6 Depth=1
	v_add_co_u32_e32 v44, vcc, 0x1000, v24
	s_nop 1
	v_addc_co_u32_e32 v45, vcc, 0, v25, vcc
	global_load_dword v6, v[44:45], off
	s_or_b64 exec, exec, s[10:11]
	v_cmp_gt_u32_e32 vcc, s8, v27
	s_and_saveexec_b64 s[10:11], vcc
	s_cbranch_execz .LBB22_13
.LBB22_40:                              ;   in Loop: Header=BB22_6 Depth=1
	v_add_co_u32_e32 v44, vcc, 0x1000, v24
	s_nop 1
	v_addc_co_u32_e32 v45, vcc, 0, v25, vcc
	global_load_dword v7, v[44:45], off offset:2048
	s_or_b64 exec, exec, s[10:11]
	v_cmp_gt_u32_e32 vcc, s8, v28
	s_and_saveexec_b64 s[10:11], vcc
	s_cbranch_execz .LBB22_14
.LBB22_41:                              ;   in Loop: Header=BB22_6 Depth=1
	v_add_co_u32_e32 v44, vcc, 0x2000, v24
	s_nop 1
	v_addc_co_u32_e32 v45, vcc, 0, v25, vcc
	global_load_dword v8, v[44:45], off
	s_or_b64 exec, exec, s[10:11]
	v_cmp_gt_u32_e32 vcc, s8, v30
	s_and_saveexec_b64 s[10:11], vcc
	s_cbranch_execz .LBB22_15
.LBB22_42:                              ;   in Loop: Header=BB22_6 Depth=1
	v_add_co_u32_e32 v44, vcc, 0x2000, v24
	s_nop 1
	v_addc_co_u32_e32 v45, vcc, 0, v25, vcc
	global_load_dword v9, v[44:45], off offset:2048
	s_or_b64 exec, exec, s[10:11]
	v_cmp_gt_u32_e32 vcc, s8, v31
	s_and_saveexec_b64 s[10:11], vcc
	s_cbranch_execz .LBB22_16
.LBB22_43:                              ;   in Loop: Header=BB22_6 Depth=1
	v_add_co_u32_e32 v44, vcc, 0x3000, v24
	s_nop 1
	v_addc_co_u32_e32 v45, vcc, 0, v25, vcc
	global_load_dword v10, v[44:45], off
	s_or_b64 exec, exec, s[10:11]
	v_cmp_gt_u32_e32 vcc, s8, v32
	s_and_saveexec_b64 s[10:11], vcc
	s_cbranch_execz .LBB22_17
.LBB22_44:                              ;   in Loop: Header=BB22_6 Depth=1
	v_add_co_u32_e32 v44, vcc, 0x3000, v24
	s_nop 1
	v_addc_co_u32_e32 v45, vcc, 0, v25, vcc
	global_load_dword v11, v[44:45], off offset:2048
	s_or_b64 exec, exec, s[10:11]
	v_cmp_gt_u32_e32 vcc, s8, v33
	s_and_saveexec_b64 s[10:11], vcc
	s_cbranch_execz .LBB22_18
.LBB22_45:                              ;   in Loop: Header=BB22_6 Depth=1
	v_add_co_u32_e32 v44, vcc, 0x4000, v24
	s_nop 1
	v_addc_co_u32_e32 v45, vcc, 0, v25, vcc
	global_load_dword v12, v[44:45], off
	s_or_b64 exec, exec, s[10:11]
	v_cmp_gt_u32_e32 vcc, s8, v34
	s_and_saveexec_b64 s[10:11], vcc
	s_cbranch_execz .LBB22_19
.LBB22_46:                              ;   in Loop: Header=BB22_6 Depth=1
	v_add_co_u32_e32 v44, vcc, 0x4000, v24
	s_nop 1
	v_addc_co_u32_e32 v45, vcc, 0, v25, vcc
	global_load_dword v13, v[44:45], off offset:2048
	s_or_b64 exec, exec, s[10:11]
	v_cmp_gt_u32_e32 vcc, s8, v35
	s_and_saveexec_b64 s[10:11], vcc
	s_cbranch_execz .LBB22_20
.LBB22_47:                              ;   in Loop: Header=BB22_6 Depth=1
	v_add_co_u32_e32 v44, vcc, 0x5000, v24
	s_nop 1
	v_addc_co_u32_e32 v45, vcc, 0, v25, vcc
	global_load_dword v14, v[44:45], off
	s_or_b64 exec, exec, s[10:11]
	v_cmp_gt_u32_e32 vcc, s8, v36
	s_and_saveexec_b64 s[10:11], vcc
	s_cbranch_execz .LBB22_21
.LBB22_48:                              ;   in Loop: Header=BB22_6 Depth=1
	v_add_co_u32_e32 v44, vcc, 0x5000, v24
	s_nop 1
	v_addc_co_u32_e32 v45, vcc, 0, v25, vcc
	global_load_dword v15, v[44:45], off offset:2048
	s_or_b64 exec, exec, s[10:11]
	v_cmp_gt_u32_e32 vcc, s8, v37
	s_and_saveexec_b64 s[10:11], vcc
	s_cbranch_execz .LBB22_22
.LBB22_49:                              ;   in Loop: Header=BB22_6 Depth=1
	v_add_co_u32_e32 v44, vcc, 0x6000, v24
	s_nop 1
	v_addc_co_u32_e32 v45, vcc, 0, v25, vcc
	global_load_dword v16, v[44:45], off
	s_or_b64 exec, exec, s[10:11]
	v_cmp_gt_u32_e32 vcc, s8, v38
	s_and_saveexec_b64 s[10:11], vcc
	s_cbranch_execz .LBB22_23
.LBB22_50:                              ;   in Loop: Header=BB22_6 Depth=1
	v_add_co_u32_e32 v44, vcc, 0x6000, v24
	s_nop 1
	v_addc_co_u32_e32 v45, vcc, 0, v25, vcc
	global_load_dword v17, v[44:45], off offset:2048
	s_or_b64 exec, exec, s[10:11]
	v_cmp_gt_u32_e32 vcc, s8, v39
	s_and_saveexec_b64 s[10:11], vcc
	s_cbranch_execz .LBB22_24
.LBB22_51:                              ;   in Loop: Header=BB22_6 Depth=1
	v_add_co_u32_e32 v44, vcc, 0x7000, v24
	s_nop 1
	v_addc_co_u32_e32 v45, vcc, 0, v25, vcc
	global_load_dword v18, v[44:45], off
	s_or_b64 exec, exec, s[10:11]
	v_cmp_gt_u32_e32 vcc, s8, v40
	s_and_saveexec_b64 s[10:11], vcc
	s_cbranch_execnz .LBB22_25
	s_branch .LBB22_26
.LBB22_52:
	v_cmp_eq_u32_e32 vcc, 0, v0
	s_and_b64 s[0:1], vcc, s[10:11]
	s_waitcnt lgkmcnt(0)
	s_and_saveexec_b64 s[4:5], s[0:1]
	s_cbranch_execz .LBB22_54
; %bb.53:
	s_lshl_b64 s[0:1], s[2:3], 2
	s_add_u32 s0, s6, s0
	s_addc_u32 s1, s7, s1
	v_mov_b32_e32 v0, 0
	global_store_dword v0, v29, s[0:1]
.LBB22_54:
	s_endpgm
	.section	.rodata,"a",@progbits
	.p2align	6, 0x0
	.amdhsa_kernel _ZN2at4cuda3cub15calc_block_sumsILi512ELi16ELb0EiiEEvPKT2_PT3_li
		.amdhsa_group_segment_fixed_size 32
		.amdhsa_private_segment_fixed_size 0
		.amdhsa_kernarg_size 28
		.amdhsa_user_sgpr_count 2
		.amdhsa_user_sgpr_dispatch_ptr 0
		.amdhsa_user_sgpr_queue_ptr 0
		.amdhsa_user_sgpr_kernarg_segment_ptr 1
		.amdhsa_user_sgpr_dispatch_id 0
		.amdhsa_user_sgpr_kernarg_preload_length 0
		.amdhsa_user_sgpr_kernarg_preload_offset 0
		.amdhsa_user_sgpr_private_segment_size 0
		.amdhsa_uses_dynamic_stack 0
		.amdhsa_enable_private_segment 0
		.amdhsa_system_sgpr_workgroup_id_x 1
		.amdhsa_system_sgpr_workgroup_id_y 0
		.amdhsa_system_sgpr_workgroup_id_z 0
		.amdhsa_system_sgpr_workgroup_info 0
		.amdhsa_system_vgpr_workitem_id 0
		.amdhsa_next_free_vgpr 48
		.amdhsa_next_free_sgpr 15
		.amdhsa_accum_offset 48
		.amdhsa_reserve_vcc 1
		.amdhsa_float_round_mode_32 0
		.amdhsa_float_round_mode_16_64 0
		.amdhsa_float_denorm_mode_32 3
		.amdhsa_float_denorm_mode_16_64 3
		.amdhsa_dx10_clamp 1
		.amdhsa_ieee_mode 1
		.amdhsa_fp16_overflow 0
		.amdhsa_tg_split 0
		.amdhsa_exception_fp_ieee_invalid_op 0
		.amdhsa_exception_fp_denorm_src 0
		.amdhsa_exception_fp_ieee_div_zero 0
		.amdhsa_exception_fp_ieee_overflow 0
		.amdhsa_exception_fp_ieee_underflow 0
		.amdhsa_exception_fp_ieee_inexact 0
		.amdhsa_exception_int_div_zero 0
	.end_amdhsa_kernel
	.section	.text._ZN2at4cuda3cub15calc_block_sumsILi512ELi16ELb0EiiEEvPKT2_PT3_li,"axG",@progbits,_ZN2at4cuda3cub15calc_block_sumsILi512ELi16ELb0EiiEEvPKT2_PT3_li,comdat
.Lfunc_end22:
	.size	_ZN2at4cuda3cub15calc_block_sumsILi512ELi16ELb0EiiEEvPKT2_PT3_li, .Lfunc_end22-_ZN2at4cuda3cub15calc_block_sumsILi512ELi16ELb0EiiEEvPKT2_PT3_li
                                        ; -- End function
	.set _ZN2at4cuda3cub15calc_block_sumsILi512ELi16ELb0EiiEEvPKT2_PT3_li.num_vgpr, 48
	.set _ZN2at4cuda3cub15calc_block_sumsILi512ELi16ELb0EiiEEvPKT2_PT3_li.num_agpr, 0
	.set _ZN2at4cuda3cub15calc_block_sumsILi512ELi16ELb0EiiEEvPKT2_PT3_li.numbered_sgpr, 15
	.set _ZN2at4cuda3cub15calc_block_sumsILi512ELi16ELb0EiiEEvPKT2_PT3_li.num_named_barrier, 0
	.set _ZN2at4cuda3cub15calc_block_sumsILi512ELi16ELb0EiiEEvPKT2_PT3_li.private_seg_size, 0
	.set _ZN2at4cuda3cub15calc_block_sumsILi512ELi16ELb0EiiEEvPKT2_PT3_li.uses_vcc, 1
	.set _ZN2at4cuda3cub15calc_block_sumsILi512ELi16ELb0EiiEEvPKT2_PT3_li.uses_flat_scratch, 0
	.set _ZN2at4cuda3cub15calc_block_sumsILi512ELi16ELb0EiiEEvPKT2_PT3_li.has_dyn_sized_stack, 0
	.set _ZN2at4cuda3cub15calc_block_sumsILi512ELi16ELb0EiiEEvPKT2_PT3_li.has_recursion, 0
	.set _ZN2at4cuda3cub15calc_block_sumsILi512ELi16ELb0EiiEEvPKT2_PT3_li.has_indirect_call, 0
	.section	.AMDGPU.csdata,"",@progbits
; Kernel info:
; codeLenInByte = 2420
; TotalNumSgprs: 21
; NumVgprs: 48
; NumAgprs: 0
; TotalNumVgprs: 48
; ScratchSize: 0
; MemoryBound: 0
; FloatMode: 240
; IeeeMode: 1
; LDSByteSize: 32 bytes/workgroup (compile time only)
; SGPRBlocks: 2
; VGPRBlocks: 5
; NumSGPRsForWavesPerEU: 21
; NumVGPRsForWavesPerEU: 48
; AccumOffset: 48
; Occupancy: 8
; WaveLimiterHint : 1
; COMPUTE_PGM_RSRC2:SCRATCH_EN: 0
; COMPUTE_PGM_RSRC2:USER_SGPR: 2
; COMPUTE_PGM_RSRC2:TRAP_HANDLER: 0
; COMPUTE_PGM_RSRC2:TGID_X_EN: 1
; COMPUTE_PGM_RSRC2:TGID_Y_EN: 0
; COMPUTE_PGM_RSRC2:TGID_Z_EN: 0
; COMPUTE_PGM_RSRC2:TIDIG_COMP_CNT: 0
; COMPUTE_PGM_RSRC3_GFX90A:ACCUM_OFFSET: 11
; COMPUTE_PGM_RSRC3_GFX90A:TG_SPLIT: 0
	.section	.text._ZN2at4cuda3cub17final_scan_kernelILi512ELi16EiEEvPKT1_PS3_S6_li,"axG",@progbits,_ZN2at4cuda3cub17final_scan_kernelILi512ELi16EiEEvPKT1_PS3_S6_li,comdat
	.protected	_ZN2at4cuda3cub17final_scan_kernelILi512ELi16EiEEvPKT1_PS3_S6_li ; -- Begin function _ZN2at4cuda3cub17final_scan_kernelILi512ELi16EiEEvPKT1_PS3_S6_li
	.globl	_ZN2at4cuda3cub17final_scan_kernelILi512ELi16EiEEvPKT1_PS3_S6_li
	.p2align	8
	.type	_ZN2at4cuda3cub17final_scan_kernelILi512ELi16EiEEvPKT1_PS3_S6_li,@function
_ZN2at4cuda3cub17final_scan_kernelILi512ELi16EiEEvPKT1_PS3_S6_li: ; @_ZN2at4cuda3cub17final_scan_kernelILi512ELi16EiEEvPKT1_PS3_S6_li
; %bb.0:
	s_load_dword s33, s[0:1], 0x20
	s_load_dwordx8 s[36:43], s[0:1], 0x0
	s_waitcnt lgkmcnt(0)
	s_lshl_b32 s3, s33, 13
	s_ashr_i32 s4, s3, 31
	s_mul_hi_u32 s5, s3, s2
	s_mul_i32 s4, s4, s2
	s_add_i32 s31, s5, s4
	s_mul_i32 s30, s3, s2
	s_sub_u32 s34, s42, s30
	s_subb_u32 s35, s43, s31
	v_cmp_lt_i64_e64 s[4:5], s[34:35], 1
	s_and_b64 vcc, exec, s[4:5]
	s_cbranch_vccnz .LBB23_98
; %bb.1:
	v_cmp_gt_u32_e32 vcc, s2, v0
	v_mov_b32_e32 v4, 0
	v_lshlrev_b32_e32 v28, 2, v0
	s_and_saveexec_b64 s[4:5], vcc
	s_cbranch_execz .LBB23_3
; %bb.2:
	global_load_dword v4, v28, s[40:41]
.LBB23_3:
	s_or_b64 exec, exec, s[4:5]
	s_load_dword s0, s[0:1], 0x34
	s_waitcnt lgkmcnt(0)
	s_and_b32 s3, s0, 0xffff
	v_add_u32_e32 v2, s3, v0
	v_cmp_gt_u32_e32 vcc, s2, v2
	s_and_saveexec_b64 s[0:1], vcc
	s_cbranch_execz .LBB23_7
; %bb.4:
	s_mov_b64 s[4:5], 0
	v_mov_b32_e32 v3, 0
.LBB23_5:                               ; =>This Inner Loop Header: Depth=1
	v_lshl_add_u64 v[6:7], v[2:3], 2, s[40:41]
	global_load_dword v1, v[6:7], off
	v_add_u32_e32 v2, s3, v2
	v_cmp_le_u32_e32 vcc, s2, v2
	s_or_b64 s[4:5], vcc, s[4:5]
	s_waitcnt vmcnt(0)
	v_add_u32_e32 v4, v1, v4
	s_andn2_b64 exec, exec, s[4:5]
	s_cbranch_execnz .LBB23_5
; %bb.6:
	s_or_b64 exec, exec, s[4:5]
.LBB23_7:
	s_or_b64 exec, exec, s[0:1]
	s_waitcnt vmcnt(0)
	v_mov_b32_dpp v2, v4 quad_perm:[1,0,3,2] row_mask:0xf bank_mask:0xf
	v_add_u32_e32 v2, v2, v4
	v_mbcnt_lo_u32_b32 v1, -1, 0
	v_mbcnt_hi_u32_b32 v1, -1, v1
	v_mov_b32_dpp v3, v2 quad_perm:[2,3,0,1] row_mask:0xf bank_mask:0xf
	v_add_u32_e32 v2, v2, v3
	v_lshlrev_b32_e32 v18, 2, v1
	v_cmp_eq_u32_e64 s[0:1], 0, v1
	v_mov_b32_dpp v3, v2 row_ror:4 row_mask:0xf bank_mask:0xf
	v_add_u32_e32 v2, v2, v3
	s_nop 1
	v_mov_b32_dpp v3, v2 row_ror:8 row_mask:0xf bank_mask:0xf
	v_add_u32_e32 v2, v2, v3
	s_nop 1
	v_mov_b32_dpp v3, v2 row_bcast:15 row_mask:0xf bank_mask:0xf
	v_add_u32_e32 v2, v2, v3
	s_nop 1
	v_mov_b32_dpp v3, v2 row_bcast:31 row_mask:0xf bank_mask:0xf
	v_add_u32_e32 v2, v2, v3
	v_or_b32_e32 v3, 0xfc, v18
	ds_bpermute_b32 v29, v3, v2
	s_and_saveexec_b64 s[2:3], s[0:1]
	s_cbranch_execz .LBB23_9
; %bb.8:
	v_lshrrev_b32_e32 v2, 4, v0
	v_and_b32_e32 v2, 60, v2
	s_waitcnt lgkmcnt(0)
	ds_write_b32 v2, v29
.LBB23_9:
	s_or_b64 exec, exec, s[2:3]
	v_cmp_lt_u32_e64 s[2:3], 63, v0
	v_cmp_gt_u32_e64 s[4:5], 64, v0
	v_and_b32_e32 v2, 7, v1
	s_waitcnt lgkmcnt(0)
	s_barrier
	s_and_saveexec_b64 s[6:7], s[4:5]
	s_cbranch_execz .LBB23_11
; %bb.10:
	v_lshlrev_b32_e32 v3, 2, v2
	ds_read_b32 v3, v3
	v_cmp_ne_u32_e32 vcc, 7, v2
	s_nop 1
	v_addc_co_u32_e32 v4, vcc, 0, v1, vcc
	v_lshlrev_b32_e32 v4, 2, v4
	s_waitcnt lgkmcnt(0)
	ds_bpermute_b32 v4, v4, v3
	v_cmp_gt_u32_e32 vcc, 6, v2
	s_waitcnt lgkmcnt(0)
	v_add_u32_e32 v3, v4, v3
	v_cndmask_b32_e64 v5, 0, 2, vcc
	v_add_lshl_u32 v5, v5, v1, 2
	ds_bpermute_b32 v4, v5, v3
	s_waitcnt lgkmcnt(0)
	v_add_u32_e32 v3, v4, v3
	v_or_b32_e32 v4, 16, v18
	ds_bpermute_b32 v4, v4, v3
	s_waitcnt lgkmcnt(0)
	v_add_u32_e32 v29, v4, v3
.LBB23_11:
	s_or_b64 exec, exec, s[6:7]
	s_cmp_lt_i32 s33, 1
	s_barrier
	s_cbranch_scc1 .LBB23_98
; %bb.12:
	v_lshlrev_b32_e32 v3, 4, v0
	s_movk_i32 s6, 0x3c00
	v_and_or_b32 v30, v3, s6, v1
	v_lshrrev_b32_e32 v3, 3, v30
	v_add_u32_e32 v31, 64, v30
	v_and_b32_e32 v3, 0x78c, v3
	v_lshlrev_b32_e32 v4, 2, v30
	v_add_u32_e32 v46, v3, v4
	v_lshrrev_b32_e32 v3, 3, v31
	v_or_b32_e32 v32, 0x80, v30
	v_and_b32_e32 v3, 0x79c, v3
	v_add_u32_e32 v47, v3, v4
	v_lshrrev_b32_e32 v3, 3, v32
	v_add_u32_e32 v33, 0xc0, v30
	v_and_b32_e32 v3, 0x79c, v3
	v_add_u32_e32 v48, v3, v4
	v_lshrrev_b32_e32 v3, 3, v33
	v_or_b32_e32 v34, 0x100, v30
	v_and_b32_e32 v3, 0x7bc, v3
	v_add_u32_e32 v49, v3, v4
	v_lshrrev_b32_e32 v3, 3, v34
	v_add_u32_e32 v35, 0x140, v30
	v_and_b32_e32 v3, 0x7ac, v3
	;; [unrolled: 8-line block ×7, first 2 shown]
	v_add_u32_e32 v60, v3, v4
	v_lshrrev_b32_e32 v3, 3, v45
	v_and_b32_e32 v3, 0xffc, v3
	v_add_u32_e32 v61, v3, v4
	v_and_b32_e32 v3, 0x3c0, v0
	v_add_u32_e32 v4, v1, v3
	v_lshlrev_b32_e32 v5, 4, v4
	v_bfe_u32 v4, v4, 1, 27
	v_min_u32_e32 v3, 0x1c0, v3
	v_add_lshl_u32 v62, v4, v5, 2
	v_and_b32_e32 v4, 15, v1
	v_or_b32_e32 v3, 63, v3
	v_cmp_eq_u32_e64 s[6:7], 0, v4
	v_cmp_lt_u32_e64 s[8:9], 1, v4
	v_cmp_lt_u32_e64 s[10:11], 3, v4
	;; [unrolled: 1-line block ×3, first 2 shown]
	v_and_b32_e32 v4, 16, v1
	v_cmp_eq_u32_e64 s[18:19], v0, v3
	v_cmp_eq_u32_e64 s[22:23], 0, v2
	v_cmp_lt_u32_e64 s[24:25], 1, v2
	v_cmp_lt_u32_e64 s[26:27], 3, v2
	v_add_u32_e32 v2, -1, v1
	v_and_b32_e32 v3, 64, v1
	v_cmp_eq_u32_e64 s[14:15], 0, v4
	v_lshrrev_b32_e32 v4, 6, v0
	v_cmp_gt_u32_e64 s[20:21], 8, v0
	v_cmp_lt_i32_e32 vcc, v2, v3
	v_cmp_eq_u32_e64 s[28:29], 0, v0
	v_mov_b32_e32 v0, 0
	v_cmp_lt_u32_e64 s[16:17], 31, v1
	v_cndmask_b32_e32 v1, v2, v1, vcc
	v_lshlrev_b32_e32 v2, 12, v4
	v_mov_b32_e32 v3, v0
	v_lshl_add_u64 v[2:3], s[30:31], 2, v[2:3]
	v_lshlrev_b32_e32 v63, 2, v4
	v_lshl_add_u64 v[4:5], s[38:39], 0, v[2:3]
	s_mov_b64 s[30:31], 0xf00
	v_lshlrev_b32_e32 v64, 2, v1
	v_mov_b32_e32 v19, v0
	v_lshl_add_u64 v[20:21], v[4:5], 0, s[30:31]
	v_lshl_add_u64 v[22:23], s[36:37], 0, v[2:3]
	s_mov_b64 s[36:37], 0x8000
	v_mov_b64_e32 v[24:25], 0x2001
	s_branch .LBB23_14
.LBB23_13:                              ;   in Loop: Header=BB23_14 Depth=1
	s_andn2_b64 vcc, exec, s[30:31]
	s_cbranch_vccz .LBB23_98
.LBB23_14:                              ; =>This Inner Loop Header: Depth=1
	v_mov_b64_e32 v[2:3], 0x1fff
	v_cmp_gt_i64_e32 vcc, s[34:35], v[2:3]
	s_mov_b64 s[38:39], -1
	v_cmp_gt_u32_e64 s[30:31], s34, v30
	s_cbranch_vccnz .LBB23_33
; %bb.15:                               ;   in Loop: Header=BB23_14 Depth=1
	v_mov_b32_e32 v2, v0
	v_mov_b32_e32 v3, v0
	;; [unrolled: 1-line block ×15, first 2 shown]
	v_mov_b64_e32 v[16:17], v[14:15]
	s_waitcnt lgkmcnt(0)
	v_lshl_add_u64 v[26:27], v[22:23], 0, v[18:19]
	v_mov_b64_e32 v[14:15], v[12:13]
	v_mov_b64_e32 v[12:13], v[10:11]
	;; [unrolled: 1-line block ×7, first 2 shown]
	s_and_saveexec_b64 s[38:39], s[30:31]
	s_cbranch_execnz .LBB23_83
; %bb.16:                               ;   in Loop: Header=BB23_14 Depth=1
	s_or_b64 exec, exec, s[38:39]
	v_cmp_gt_u32_e32 vcc, s34, v31
	s_and_saveexec_b64 s[30:31], vcc
	s_cbranch_execnz .LBB23_84
.LBB23_17:                              ;   in Loop: Header=BB23_14 Depth=1
	s_or_b64 exec, exec, s[30:31]
	v_cmp_gt_u32_e32 vcc, s34, v32
	s_and_saveexec_b64 s[30:31], vcc
	s_cbranch_execnz .LBB23_85
.LBB23_18:                              ;   in Loop: Header=BB23_14 Depth=1
	s_or_b64 exec, exec, s[30:31]
	v_cmp_gt_u32_e32 vcc, s34, v33
	s_and_saveexec_b64 s[30:31], vcc
	s_cbranch_execnz .LBB23_86
.LBB23_19:                              ;   in Loop: Header=BB23_14 Depth=1
	s_or_b64 exec, exec, s[30:31]
	v_cmp_gt_u32_e32 vcc, s34, v34
	s_and_saveexec_b64 s[30:31], vcc
	s_cbranch_execnz .LBB23_87
.LBB23_20:                              ;   in Loop: Header=BB23_14 Depth=1
	s_or_b64 exec, exec, s[30:31]
	v_cmp_gt_u32_e32 vcc, s34, v35
	s_and_saveexec_b64 s[30:31], vcc
	s_cbranch_execnz .LBB23_88
.LBB23_21:                              ;   in Loop: Header=BB23_14 Depth=1
	s_or_b64 exec, exec, s[30:31]
	v_cmp_gt_u32_e32 vcc, s34, v36
	s_and_saveexec_b64 s[30:31], vcc
	s_cbranch_execnz .LBB23_89
.LBB23_22:                              ;   in Loop: Header=BB23_14 Depth=1
	s_or_b64 exec, exec, s[30:31]
	v_cmp_gt_u32_e32 vcc, s34, v37
	s_and_saveexec_b64 s[30:31], vcc
	s_cbranch_execnz .LBB23_90
.LBB23_23:                              ;   in Loop: Header=BB23_14 Depth=1
	s_or_b64 exec, exec, s[30:31]
	v_cmp_gt_u32_e32 vcc, s34, v38
	s_and_saveexec_b64 s[30:31], vcc
	s_cbranch_execnz .LBB23_91
.LBB23_24:                              ;   in Loop: Header=BB23_14 Depth=1
	s_or_b64 exec, exec, s[30:31]
	v_cmp_gt_u32_e32 vcc, s34, v39
	s_and_saveexec_b64 s[30:31], vcc
	s_cbranch_execnz .LBB23_92
.LBB23_25:                              ;   in Loop: Header=BB23_14 Depth=1
	s_or_b64 exec, exec, s[30:31]
	v_cmp_gt_u32_e32 vcc, s34, v40
	s_and_saveexec_b64 s[30:31], vcc
	s_cbranch_execnz .LBB23_93
.LBB23_26:                              ;   in Loop: Header=BB23_14 Depth=1
	s_or_b64 exec, exec, s[30:31]
	v_cmp_gt_u32_e32 vcc, s34, v41
	s_and_saveexec_b64 s[30:31], vcc
	s_cbranch_execnz .LBB23_94
.LBB23_27:                              ;   in Loop: Header=BB23_14 Depth=1
	s_or_b64 exec, exec, s[30:31]
	v_cmp_gt_u32_e32 vcc, s34, v42
	s_and_saveexec_b64 s[30:31], vcc
	s_cbranch_execnz .LBB23_95
.LBB23_28:                              ;   in Loop: Header=BB23_14 Depth=1
	s_or_b64 exec, exec, s[30:31]
	v_cmp_gt_u32_e32 vcc, s34, v43
	s_and_saveexec_b64 s[30:31], vcc
	s_cbranch_execnz .LBB23_96
.LBB23_29:                              ;   in Loop: Header=BB23_14 Depth=1
	s_or_b64 exec, exec, s[30:31]
	v_cmp_gt_u32_e32 vcc, s34, v44
	s_and_saveexec_b64 s[30:31], vcc
	s_cbranch_execnz .LBB23_97
.LBB23_30:                              ;   in Loop: Header=BB23_14 Depth=1
	s_or_b64 exec, exec, s[30:31]
	v_cmp_gt_u32_e32 vcc, s34, v45
	s_and_saveexec_b64 s[30:31], vcc
	s_cbranch_execz .LBB23_32
.LBB23_31:                              ;   in Loop: Header=BB23_14 Depth=1
	global_load_dword v17, v[26:27], off offset:3840
.LBB23_32:                              ;   in Loop: Header=BB23_14 Depth=1
	s_or_b64 exec, exec, s[30:31]
	s_mov_b64 s[38:39], 0
	s_waitcnt vmcnt(0)
	ds_write_b32 v46, v2
	ds_write_b32 v47, v3 offset:256
	ds_write_b32 v48, v4 offset:512
	ds_write_b32 v49, v5 offset:768
	ds_write_b32 v50, v6 offset:1024
	ds_write_b32 v51, v7 offset:1280
	ds_write_b32 v52, v8 offset:1536
	ds_write_b32 v53, v9 offset:1792
	ds_write_b32 v54, v10 offset:2048
	ds_write_b32 v55, v11 offset:2304
	ds_write_b32 v56, v12 offset:2560
	ds_write_b32 v57, v13 offset:2816
	ds_write_b32 v58, v14 offset:3072
	ds_write_b32 v59, v15 offset:3328
	ds_write_b32 v60, v16 offset:3584
	ds_write_b32 v61, v17 offset:3840
	; wave barrier
.LBB23_33:                              ;   in Loop: Header=BB23_14 Depth=1
	s_and_b64 vcc, exec, s[38:39]
	s_cbranch_vccz .LBB23_35
; %bb.34:                               ;   in Loop: Header=BB23_14 Depth=1
	v_lshl_add_u64 v[2:3], v[22:23], 0, v[18:19]
	global_load_dword v1, v[2:3], off
	global_load_dword v4, v[2:3], off offset:256
	global_load_dword v5, v[2:3], off offset:512
	;; [unrolled: 1-line block ×14, first 2 shown]
	s_nop 0
	global_load_dword v2, v[2:3], off offset:3840
	s_waitcnt vmcnt(15)
	ds_write_b32 v46, v1
	s_waitcnt vmcnt(14)
	ds_write_b32 v47, v4 offset:256
	s_waitcnt vmcnt(13)
	ds_write_b32 v48, v5 offset:512
	;; [unrolled: 2-line block ×15, first 2 shown]
	; wave barrier
.LBB23_35:                              ;   in Loop: Header=BB23_14 Depth=1
	ds_read2_b32 v[16:17], v62 offset1:1
	ds_read2_b32 v[14:15], v62 offset0:2 offset1:3
	ds_read2_b32 v[12:13], v62 offset0:4 offset1:5
	;; [unrolled: 1-line block ×7, first 2 shown]
	s_waitcnt lgkmcnt(7)
	v_add_u32_e32 v1, v17, v16
	s_waitcnt lgkmcnt(6)
	v_add3_u32 v1, v1, v14, v15
	s_waitcnt lgkmcnt(5)
	v_add3_u32 v1, v1, v12, v13
	s_waitcnt lgkmcnt(4)
	v_add3_u32 v1, v1, v10, v11
	s_waitcnt lgkmcnt(3)
	v_add3_u32 v1, v1, v8, v9
	s_waitcnt lgkmcnt(2)
	v_add3_u32 v1, v1, v6, v7
	s_waitcnt lgkmcnt(1)
	v_add3_u32 v1, v1, v4, v5
	s_waitcnt lgkmcnt(0)
	v_add3_u32 v1, v1, v2, v3
	s_barrier
	s_nop 0
	v_mov_b32_dpp v26, v1 row_shr:1 row_mask:0xf bank_mask:0xf
	v_cndmask_b32_e64 v26, v26, 0, s[6:7]
	v_add_u32_e32 v1, v1, v26
	s_nop 1
	v_mov_b32_dpp v26, v1 row_shr:2 row_mask:0xf bank_mask:0xf
	v_cndmask_b32_e64 v26, 0, v26, s[8:9]
	v_add_u32_e32 v1, v1, v26
	;; [unrolled: 4-line block ×4, first 2 shown]
	s_nop 1
	v_mov_b32_dpp v26, v1 row_bcast:15 row_mask:0xf bank_mask:0xf
	v_cndmask_b32_e64 v26, v26, 0, s[14:15]
	v_add_u32_e32 v1, v1, v26
	s_nop 1
	v_mov_b32_dpp v26, v1 row_bcast:31 row_mask:0xf bank_mask:0xf
	v_cndmask_b32_e64 v26, 0, v26, s[16:17]
	v_add_u32_e32 v1, v1, v26
	s_and_saveexec_b64 s[30:31], s[18:19]
; %bb.36:                               ;   in Loop: Header=BB23_14 Depth=1
	ds_write_b32 v63, v1
; %bb.37:                               ;   in Loop: Header=BB23_14 Depth=1
	s_or_b64 exec, exec, s[30:31]
	s_waitcnt lgkmcnt(0)
	s_barrier
	s_and_saveexec_b64 s[30:31], s[20:21]
	s_cbranch_execz .LBB23_39
; %bb.38:                               ;   in Loop: Header=BB23_14 Depth=1
	ds_read_b32 v26, v28
	s_waitcnt lgkmcnt(0)
	s_nop 0
	v_mov_b32_dpp v27, v26 row_shr:1 row_mask:0xf bank_mask:0xf
	v_cndmask_b32_e64 v27, v27, 0, s[22:23]
	v_add_u32_e32 v26, v27, v26
	s_nop 1
	v_mov_b32_dpp v27, v26 row_shr:2 row_mask:0xf bank_mask:0xf
	v_cndmask_b32_e64 v27, 0, v27, s[24:25]
	v_add_u32_e32 v26, v26, v27
	;; [unrolled: 4-line block ×3, first 2 shown]
	ds_write_b32 v28, v26
.LBB23_39:                              ;   in Loop: Header=BB23_14 Depth=1
	s_or_b64 exec, exec, s[30:31]
	s_waitcnt lgkmcnt(0)
	s_barrier
                                        ; implicit-def: $vgpr26
	s_and_saveexec_b64 s[30:31], s[2:3]
	s_cbranch_execz .LBB23_41
; %bb.40:                               ;   in Loop: Header=BB23_14 Depth=1
	v_add_u32_e32 v26, -4, v63
	ds_read_b32 v26, v26
	s_waitcnt lgkmcnt(0)
	v_add_u32_e32 v1, v26, v1
.LBB23_41:                              ;   in Loop: Header=BB23_14 Depth=1
	s_or_b64 exec, exec, s[30:31]
	ds_bpermute_b32 v1, v64, v1
	s_and_saveexec_b64 s[30:31], s[4:5]
	s_cbranch_execz .LBB23_45
; %bb.42:                               ;   in Loop: Header=BB23_14 Depth=1
	ds_read_b32 v27, v0 offset:28
	s_and_saveexec_b64 s[38:39], s[28:29]
; %bb.43:                               ;   in Loop: Header=BB23_14 Depth=1
	ds_write_b32 v0, v29 offset:28
; %bb.44:                               ;   in Loop: Header=BB23_14 Depth=1
	s_or_b64 exec, exec, s[38:39]
	s_waitcnt lgkmcnt(0)
	v_add_u32_e32 v29, v27, v29
.LBB23_45:                              ;   in Loop: Header=BB23_14 Depth=1
	s_or_b64 exec, exec, s[30:31]
	s_waitcnt lgkmcnt(0)
	s_barrier
	ds_read_b32 v27, v0 offset:28
	v_cndmask_b32_e64 v1, v1, v26, s[0:1]
	v_cndmask_b32_e64 v1, v1, 0, s[28:29]
	v_mov_b64_e32 v[66:67], 0x2000
	v_cmp_lt_i64_e32 vcc, s[34:35], v[66:67]
	s_waitcnt lgkmcnt(0)
	v_add3_u32 v1, v1, v16, v27
	v_add_u32_e32 v16, v1, v17
	v_add_u32_e32 v14, v16, v14
	;; [unrolled: 1-line block ×15, first 2 shown]
	v_lshl_add_u64 v[2:3], v[20:21], 0, v[18:19]
	s_barrier
	s_cbranch_vccz .LBB23_68
; %bb.46:                               ;   in Loop: Header=BB23_14 Depth=1
	ds_write2_b32 v62, v1, v16 offset1:1
	ds_write2_b32 v62, v14, v15 offset0:2 offset1:3
	ds_write2_b32 v62, v12, v13 offset0:4 offset1:5
	;; [unrolled: 1-line block ×7, first 2 shown]
	; wave barrier
	ds_read_b32 v79, v46
	ds_read_b32 v78, v47 offset:256
	ds_read_b32 v77, v48 offset:512
	;; [unrolled: 1-line block ×15, first 2 shown]
	v_cmp_gt_u32_e32 vcc, s34, v30
	s_and_saveexec_b64 s[30:31], vcc
	s_cbranch_execnz .LBB23_69
; %bb.47:                               ;   in Loop: Header=BB23_14 Depth=1
	s_or_b64 exec, exec, s[30:31]
	v_cmp_gt_u32_e32 vcc, s34, v31
	s_and_saveexec_b64 s[30:31], vcc
	s_cbranch_execnz .LBB23_70
.LBB23_48:                              ;   in Loop: Header=BB23_14 Depth=1
	s_or_b64 exec, exec, s[30:31]
	v_cmp_gt_u32_e32 vcc, s34, v32
	s_and_saveexec_b64 s[30:31], vcc
	s_cbranch_execnz .LBB23_71
.LBB23_49:                              ;   in Loop: Header=BB23_14 Depth=1
	s_or_b64 exec, exec, s[30:31]
	v_cmp_gt_u32_e32 vcc, s34, v33
	s_and_saveexec_b64 s[30:31], vcc
	s_cbranch_execnz .LBB23_72
.LBB23_50:                              ;   in Loop: Header=BB23_14 Depth=1
	s_or_b64 exec, exec, s[30:31]
	v_cmp_gt_u32_e32 vcc, s34, v34
	s_and_saveexec_b64 s[30:31], vcc
	s_cbranch_execnz .LBB23_73
.LBB23_51:                              ;   in Loop: Header=BB23_14 Depth=1
	s_or_b64 exec, exec, s[30:31]
	v_cmp_gt_u32_e32 vcc, s34, v35
	s_and_saveexec_b64 s[30:31], vcc
	s_cbranch_execnz .LBB23_74
.LBB23_52:                              ;   in Loop: Header=BB23_14 Depth=1
	s_or_b64 exec, exec, s[30:31]
	v_cmp_gt_u32_e32 vcc, s34, v36
	s_and_saveexec_b64 s[30:31], vcc
	s_cbranch_execnz .LBB23_75
.LBB23_53:                              ;   in Loop: Header=BB23_14 Depth=1
	s_or_b64 exec, exec, s[30:31]
	v_cmp_gt_u32_e32 vcc, s34, v37
	s_and_saveexec_b64 s[30:31], vcc
	s_cbranch_execnz .LBB23_76
.LBB23_54:                              ;   in Loop: Header=BB23_14 Depth=1
	s_or_b64 exec, exec, s[30:31]
	v_cmp_gt_u32_e32 vcc, s34, v38
	s_and_saveexec_b64 s[30:31], vcc
	s_cbranch_execnz .LBB23_77
.LBB23_55:                              ;   in Loop: Header=BB23_14 Depth=1
	s_or_b64 exec, exec, s[30:31]
	v_cmp_gt_u32_e32 vcc, s34, v39
	s_and_saveexec_b64 s[30:31], vcc
	s_cbranch_execnz .LBB23_78
.LBB23_56:                              ;   in Loop: Header=BB23_14 Depth=1
	s_or_b64 exec, exec, s[30:31]
	v_cmp_gt_u32_e32 vcc, s34, v40
	s_and_saveexec_b64 s[30:31], vcc
	s_cbranch_execnz .LBB23_79
.LBB23_57:                              ;   in Loop: Header=BB23_14 Depth=1
	s_or_b64 exec, exec, s[30:31]
	v_cmp_gt_u32_e32 vcc, s34, v41
	s_and_saveexec_b64 s[30:31], vcc
	s_cbranch_execnz .LBB23_80
.LBB23_58:                              ;   in Loop: Header=BB23_14 Depth=1
	s_or_b64 exec, exec, s[30:31]
	v_cmp_gt_u32_e32 vcc, s34, v42
	s_and_saveexec_b64 s[30:31], vcc
	s_cbranch_execnz .LBB23_81
.LBB23_59:                              ;   in Loop: Header=BB23_14 Depth=1
	s_or_b64 exec, exec, s[30:31]
	v_cmp_gt_u32_e32 vcc, s34, v43
	s_and_saveexec_b64 s[30:31], vcc
	s_cbranch_execnz .LBB23_82
.LBB23_60:                              ;   in Loop: Header=BB23_14 Depth=1
	s_or_b64 exec, exec, s[30:31]
	v_cmp_gt_u32_e32 vcc, s34, v44
	s_and_saveexec_b64 s[30:31], vcc
	s_cbranch_execz .LBB23_62
.LBB23_61:                              ;   in Loop: Header=BB23_14 Depth=1
	s_waitcnt lgkmcnt(1)
	global_store_dword v[2:3], v65, off offset:-256
.LBB23_62:                              ;   in Loop: Header=BB23_14 Depth=1
	s_or_b64 exec, exec, s[30:31]
	v_cmp_gt_u32_e64 s[30:31], s34, v45
	s_branch .LBB23_64
.LBB23_63:                              ;   in Loop: Header=BB23_14 Depth=1
	ds_write2_b32 v62, v1, v16 offset1:1
	ds_write2_b32 v62, v14, v15 offset0:2 offset1:3
	ds_write2_b32 v62, v12, v13 offset0:4 offset1:5
	;; [unrolled: 1-line block ×7, first 2 shown]
	; wave barrier
	ds_read_b32 v1, v46
	ds_read_b32 v4, v47 offset:256
	ds_read_b32 v5, v48 offset:512
	ds_read_b32 v6, v49 offset:768
	ds_read_b32 v7, v50 offset:1024
	ds_read_b32 v8, v51 offset:1280
	ds_read_b32 v9, v52 offset:1536
	ds_read_b32 v10, v53 offset:1792
	ds_read_b32 v11, v54 offset:2048
	ds_read_b32 v12, v55 offset:2304
	ds_read_b32 v13, v56 offset:2560
	ds_read_b32 v14, v57 offset:2816
	ds_read_b32 v15, v58 offset:3072
	ds_read_b32 v16, v59 offset:3328
	ds_read_b32 v17, v60 offset:3584
	s_waitcnt lgkmcnt(14)
	ds_read_b32 v27, v61 offset:3840
	s_or_b64 s[30:31], s[30:31], exec
	global_store_dword v[2:3], v1, off offset:-3840
	s_waitcnt lgkmcnt(14)
	global_store_dword v[2:3], v4, off offset:-3584
	s_waitcnt lgkmcnt(13)
	;; [unrolled: 2-line block ×14, first 2 shown]
	global_store_dword v[2:3], v17, off offset:-256
.LBB23_64:                              ;   in Loop: Header=BB23_14 Depth=1
	s_and_saveexec_b64 s[38:39], s[30:31]
	s_cbranch_execz .LBB23_66
; %bb.65:                               ;   in Loop: Header=BB23_14 Depth=1
	s_waitcnt lgkmcnt(0)
	global_store_dword v[2:3], v27, off
.LBB23_66:                              ;   in Loop: Header=BB23_14 Depth=1
	s_or_b64 exec, exec, s[38:39]
	v_cmp_lt_i64_e32 vcc, s[34:35], v[24:25]
	s_mov_b64 s[30:31], -1
	s_cbranch_vccnz .LBB23_13
; %bb.67:                               ;   in Loop: Header=BB23_14 Depth=1
	s_add_u32 s34, s34, 0xffffe000
	s_addc_u32 s35, s35, -1
	s_add_i32 s33, s33, -1
	s_cmp_eq_u32 s33, 0
	v_lshl_add_u64 v[20:21], v[20:21], 0, s[36:37]
	v_lshl_add_u64 v[22:23], v[22:23], 0, s[36:37]
	s_cselect_b64 s[30:31], -1, 0
	s_waitcnt lgkmcnt(0)
	s_barrier
	s_branch .LBB23_13
.LBB23_68:                              ;   in Loop: Header=BB23_14 Depth=1
	s_mov_b64 s[30:31], 0
                                        ; implicit-def: $vgpr27
	s_cbranch_execnz .LBB23_63
	s_branch .LBB23_64
.LBB23_69:                              ;   in Loop: Header=BB23_14 Depth=1
	s_waitcnt lgkmcnt(14)
	global_store_dword v[2:3], v79, off offset:-3840
	s_or_b64 exec, exec, s[30:31]
	v_cmp_gt_u32_e32 vcc, s34, v31
	s_and_saveexec_b64 s[30:31], vcc
	s_cbranch_execz .LBB23_48
.LBB23_70:                              ;   in Loop: Header=BB23_14 Depth=1
	s_waitcnt lgkmcnt(14)
	global_store_dword v[2:3], v78, off offset:-3584
	s_or_b64 exec, exec, s[30:31]
	v_cmp_gt_u32_e32 vcc, s34, v32
	s_and_saveexec_b64 s[30:31], vcc
	s_cbranch_execz .LBB23_49
.LBB23_71:                              ;   in Loop: Header=BB23_14 Depth=1
	s_waitcnt lgkmcnt(13)
	global_store_dword v[2:3], v77, off offset:-3328
	s_or_b64 exec, exec, s[30:31]
	v_cmp_gt_u32_e32 vcc, s34, v33
	s_and_saveexec_b64 s[30:31], vcc
	s_cbranch_execz .LBB23_50
.LBB23_72:                              ;   in Loop: Header=BB23_14 Depth=1
	s_waitcnt lgkmcnt(12)
	global_store_dword v[2:3], v76, off offset:-3072
	s_or_b64 exec, exec, s[30:31]
	v_cmp_gt_u32_e32 vcc, s34, v34
	s_and_saveexec_b64 s[30:31], vcc
	s_cbranch_execz .LBB23_51
.LBB23_73:                              ;   in Loop: Header=BB23_14 Depth=1
	s_waitcnt lgkmcnt(11)
	global_store_dword v[2:3], v75, off offset:-2816
	s_or_b64 exec, exec, s[30:31]
	v_cmp_gt_u32_e32 vcc, s34, v35
	s_and_saveexec_b64 s[30:31], vcc
	s_cbranch_execz .LBB23_52
.LBB23_74:                              ;   in Loop: Header=BB23_14 Depth=1
	s_waitcnt lgkmcnt(10)
	global_store_dword v[2:3], v74, off offset:-2560
	s_or_b64 exec, exec, s[30:31]
	v_cmp_gt_u32_e32 vcc, s34, v36
	s_and_saveexec_b64 s[30:31], vcc
	s_cbranch_execz .LBB23_53
.LBB23_75:                              ;   in Loop: Header=BB23_14 Depth=1
	s_waitcnt lgkmcnt(9)
	global_store_dword v[2:3], v73, off offset:-2304
	s_or_b64 exec, exec, s[30:31]
	v_cmp_gt_u32_e32 vcc, s34, v37
	s_and_saveexec_b64 s[30:31], vcc
	s_cbranch_execz .LBB23_54
.LBB23_76:                              ;   in Loop: Header=BB23_14 Depth=1
	s_waitcnt lgkmcnt(8)
	global_store_dword v[2:3], v72, off offset:-2048
	s_or_b64 exec, exec, s[30:31]
	v_cmp_gt_u32_e32 vcc, s34, v38
	s_and_saveexec_b64 s[30:31], vcc
	s_cbranch_execz .LBB23_55
.LBB23_77:                              ;   in Loop: Header=BB23_14 Depth=1
	s_waitcnt lgkmcnt(7)
	global_store_dword v[2:3], v71, off offset:-1792
	s_or_b64 exec, exec, s[30:31]
	v_cmp_gt_u32_e32 vcc, s34, v39
	s_and_saveexec_b64 s[30:31], vcc
	s_cbranch_execz .LBB23_56
.LBB23_78:                              ;   in Loop: Header=BB23_14 Depth=1
	s_waitcnt lgkmcnt(6)
	global_store_dword v[2:3], v70, off offset:-1536
	s_or_b64 exec, exec, s[30:31]
	v_cmp_gt_u32_e32 vcc, s34, v40
	s_and_saveexec_b64 s[30:31], vcc
	s_cbranch_execz .LBB23_57
.LBB23_79:                              ;   in Loop: Header=BB23_14 Depth=1
	s_waitcnt lgkmcnt(5)
	global_store_dword v[2:3], v69, off offset:-1280
	s_or_b64 exec, exec, s[30:31]
	v_cmp_gt_u32_e32 vcc, s34, v41
	s_and_saveexec_b64 s[30:31], vcc
	s_cbranch_execz .LBB23_58
.LBB23_80:                              ;   in Loop: Header=BB23_14 Depth=1
	s_waitcnt lgkmcnt(4)
	global_store_dword v[2:3], v68, off offset:-1024
	s_or_b64 exec, exec, s[30:31]
	v_cmp_gt_u32_e32 vcc, s34, v42
	s_and_saveexec_b64 s[30:31], vcc
	s_cbranch_execz .LBB23_59
.LBB23_81:                              ;   in Loop: Header=BB23_14 Depth=1
	s_waitcnt lgkmcnt(3)
	global_store_dword v[2:3], v67, off offset:-768
	s_or_b64 exec, exec, s[30:31]
	v_cmp_gt_u32_e32 vcc, s34, v43
	s_and_saveexec_b64 s[30:31], vcc
	s_cbranch_execz .LBB23_60
.LBB23_82:                              ;   in Loop: Header=BB23_14 Depth=1
	s_waitcnt lgkmcnt(2)
	global_store_dword v[2:3], v66, off offset:-512
	s_or_b64 exec, exec, s[30:31]
	v_cmp_gt_u32_e32 vcc, s34, v44
	s_and_saveexec_b64 s[30:31], vcc
	s_cbranch_execnz .LBB23_61
	s_branch .LBB23_62
.LBB23_83:                              ;   in Loop: Header=BB23_14 Depth=1
	global_load_dword v2, v[26:27], off
	v_mov_b32_e32 v3, v0
	v_mov_b32_e32 v4, v0
	;; [unrolled: 1-line block ×15, first 2 shown]
	s_or_b64 exec, exec, s[38:39]
	v_cmp_gt_u32_e32 vcc, s34, v31
	s_and_saveexec_b64 s[30:31], vcc
	s_cbranch_execz .LBB23_17
.LBB23_84:                              ;   in Loop: Header=BB23_14 Depth=1
	global_load_dword v3, v[26:27], off offset:256
	s_or_b64 exec, exec, s[30:31]
	v_cmp_gt_u32_e32 vcc, s34, v32
	s_and_saveexec_b64 s[30:31], vcc
	s_cbranch_execz .LBB23_18
.LBB23_85:                              ;   in Loop: Header=BB23_14 Depth=1
	global_load_dword v4, v[26:27], off offset:512
	s_or_b64 exec, exec, s[30:31]
	v_cmp_gt_u32_e32 vcc, s34, v33
	s_and_saveexec_b64 s[30:31], vcc
	s_cbranch_execz .LBB23_19
.LBB23_86:                              ;   in Loop: Header=BB23_14 Depth=1
	global_load_dword v5, v[26:27], off offset:768
	s_or_b64 exec, exec, s[30:31]
	v_cmp_gt_u32_e32 vcc, s34, v34
	s_and_saveexec_b64 s[30:31], vcc
	s_cbranch_execz .LBB23_20
.LBB23_87:                              ;   in Loop: Header=BB23_14 Depth=1
	global_load_dword v6, v[26:27], off offset:1024
	s_or_b64 exec, exec, s[30:31]
	v_cmp_gt_u32_e32 vcc, s34, v35
	s_and_saveexec_b64 s[30:31], vcc
	s_cbranch_execz .LBB23_21
.LBB23_88:                              ;   in Loop: Header=BB23_14 Depth=1
	global_load_dword v7, v[26:27], off offset:1280
	s_or_b64 exec, exec, s[30:31]
	v_cmp_gt_u32_e32 vcc, s34, v36
	s_and_saveexec_b64 s[30:31], vcc
	s_cbranch_execz .LBB23_22
.LBB23_89:                              ;   in Loop: Header=BB23_14 Depth=1
	global_load_dword v8, v[26:27], off offset:1536
	s_or_b64 exec, exec, s[30:31]
	v_cmp_gt_u32_e32 vcc, s34, v37
	s_and_saveexec_b64 s[30:31], vcc
	s_cbranch_execz .LBB23_23
.LBB23_90:                              ;   in Loop: Header=BB23_14 Depth=1
	global_load_dword v9, v[26:27], off offset:1792
	s_or_b64 exec, exec, s[30:31]
	v_cmp_gt_u32_e32 vcc, s34, v38
	s_and_saveexec_b64 s[30:31], vcc
	s_cbranch_execz .LBB23_24
.LBB23_91:                              ;   in Loop: Header=BB23_14 Depth=1
	global_load_dword v10, v[26:27], off offset:2048
	s_or_b64 exec, exec, s[30:31]
	v_cmp_gt_u32_e32 vcc, s34, v39
	s_and_saveexec_b64 s[30:31], vcc
	s_cbranch_execz .LBB23_25
.LBB23_92:                              ;   in Loop: Header=BB23_14 Depth=1
	global_load_dword v11, v[26:27], off offset:2304
	s_or_b64 exec, exec, s[30:31]
	v_cmp_gt_u32_e32 vcc, s34, v40
	s_and_saveexec_b64 s[30:31], vcc
	s_cbranch_execz .LBB23_26
.LBB23_93:                              ;   in Loop: Header=BB23_14 Depth=1
	global_load_dword v12, v[26:27], off offset:2560
	s_or_b64 exec, exec, s[30:31]
	v_cmp_gt_u32_e32 vcc, s34, v41
	s_and_saveexec_b64 s[30:31], vcc
	s_cbranch_execz .LBB23_27
.LBB23_94:                              ;   in Loop: Header=BB23_14 Depth=1
	global_load_dword v13, v[26:27], off offset:2816
	s_or_b64 exec, exec, s[30:31]
	v_cmp_gt_u32_e32 vcc, s34, v42
	s_and_saveexec_b64 s[30:31], vcc
	s_cbranch_execz .LBB23_28
.LBB23_95:                              ;   in Loop: Header=BB23_14 Depth=1
	global_load_dword v14, v[26:27], off offset:3072
	s_or_b64 exec, exec, s[30:31]
	v_cmp_gt_u32_e32 vcc, s34, v43
	s_and_saveexec_b64 s[30:31], vcc
	s_cbranch_execz .LBB23_29
.LBB23_96:                              ;   in Loop: Header=BB23_14 Depth=1
	global_load_dword v15, v[26:27], off offset:3328
	s_or_b64 exec, exec, s[30:31]
	v_cmp_gt_u32_e32 vcc, s34, v44
	s_and_saveexec_b64 s[30:31], vcc
	s_cbranch_execz .LBB23_30
.LBB23_97:                              ;   in Loop: Header=BB23_14 Depth=1
	global_load_dword v16, v[26:27], off offset:3584
	s_or_b64 exec, exec, s[30:31]
	v_cmp_gt_u32_e32 vcc, s34, v45
	s_and_saveexec_b64 s[30:31], vcc
	s_cbranch_execnz .LBB23_31
	s_branch .LBB23_32
.LBB23_98:
	s_endpgm
	.section	.rodata,"a",@progbits
	.p2align	6, 0x0
	.amdhsa_kernel _ZN2at4cuda3cub17final_scan_kernelILi512ELi16EiEEvPKT1_PS3_S6_li
		.amdhsa_group_segment_fixed_size 33792
		.amdhsa_private_segment_fixed_size 0
		.amdhsa_kernarg_size 296
		.amdhsa_user_sgpr_count 2
		.amdhsa_user_sgpr_dispatch_ptr 0
		.amdhsa_user_sgpr_queue_ptr 0
		.amdhsa_user_sgpr_kernarg_segment_ptr 1
		.amdhsa_user_sgpr_dispatch_id 0
		.amdhsa_user_sgpr_kernarg_preload_length 0
		.amdhsa_user_sgpr_kernarg_preload_offset 0
		.amdhsa_user_sgpr_private_segment_size 0
		.amdhsa_uses_dynamic_stack 0
		.amdhsa_enable_private_segment 0
		.amdhsa_system_sgpr_workgroup_id_x 1
		.amdhsa_system_sgpr_workgroup_id_y 0
		.amdhsa_system_sgpr_workgroup_id_z 0
		.amdhsa_system_sgpr_workgroup_info 0
		.amdhsa_system_vgpr_workitem_id 0
		.amdhsa_next_free_vgpr 80
		.amdhsa_next_free_sgpr 44
		.amdhsa_accum_offset 80
		.amdhsa_reserve_vcc 1
		.amdhsa_float_round_mode_32 0
		.amdhsa_float_round_mode_16_64 0
		.amdhsa_float_denorm_mode_32 3
		.amdhsa_float_denorm_mode_16_64 3
		.amdhsa_dx10_clamp 1
		.amdhsa_ieee_mode 1
		.amdhsa_fp16_overflow 0
		.amdhsa_tg_split 0
		.amdhsa_exception_fp_ieee_invalid_op 0
		.amdhsa_exception_fp_denorm_src 0
		.amdhsa_exception_fp_ieee_div_zero 0
		.amdhsa_exception_fp_ieee_overflow 0
		.amdhsa_exception_fp_ieee_underflow 0
		.amdhsa_exception_fp_ieee_inexact 0
		.amdhsa_exception_int_div_zero 0
	.end_amdhsa_kernel
	.section	.text._ZN2at4cuda3cub17final_scan_kernelILi512ELi16EiEEvPKT1_PS3_S6_li,"axG",@progbits,_ZN2at4cuda3cub17final_scan_kernelILi512ELi16EiEEvPKT1_PS3_S6_li,comdat
.Lfunc_end23:
	.size	_ZN2at4cuda3cub17final_scan_kernelILi512ELi16EiEEvPKT1_PS3_S6_li, .Lfunc_end23-_ZN2at4cuda3cub17final_scan_kernelILi512ELi16EiEEvPKT1_PS3_S6_li
                                        ; -- End function
	.set _ZN2at4cuda3cub17final_scan_kernelILi512ELi16EiEEvPKT1_PS3_S6_li.num_vgpr, 80
	.set _ZN2at4cuda3cub17final_scan_kernelILi512ELi16EiEEvPKT1_PS3_S6_li.num_agpr, 0
	.set _ZN2at4cuda3cub17final_scan_kernelILi512ELi16EiEEvPKT1_PS3_S6_li.numbered_sgpr, 44
	.set _ZN2at4cuda3cub17final_scan_kernelILi512ELi16EiEEvPKT1_PS3_S6_li.num_named_barrier, 0
	.set _ZN2at4cuda3cub17final_scan_kernelILi512ELi16EiEEvPKT1_PS3_S6_li.private_seg_size, 0
	.set _ZN2at4cuda3cub17final_scan_kernelILi512ELi16EiEEvPKT1_PS3_S6_li.uses_vcc, 1
	.set _ZN2at4cuda3cub17final_scan_kernelILi512ELi16EiEEvPKT1_PS3_S6_li.uses_flat_scratch, 0
	.set _ZN2at4cuda3cub17final_scan_kernelILi512ELi16EiEEvPKT1_PS3_S6_li.has_dyn_sized_stack, 0
	.set _ZN2at4cuda3cub17final_scan_kernelILi512ELi16EiEEvPKT1_PS3_S6_li.has_recursion, 0
	.set _ZN2at4cuda3cub17final_scan_kernelILi512ELi16EiEEvPKT1_PS3_S6_li.has_indirect_call, 0
	.section	.AMDGPU.csdata,"",@progbits
; Kernel info:
; codeLenInByte = 4448
; TotalNumSgprs: 50
; NumVgprs: 80
; NumAgprs: 0
; TotalNumVgprs: 80
; ScratchSize: 0
; MemoryBound: 0
; FloatMode: 240
; IeeeMode: 1
; LDSByteSize: 33792 bytes/workgroup (compile time only)
; SGPRBlocks: 6
; VGPRBlocks: 9
; NumSGPRsForWavesPerEU: 50
; NumVGPRsForWavesPerEU: 80
; AccumOffset: 80
; Occupancy: 6
; WaveLimiterHint : 1
; COMPUTE_PGM_RSRC2:SCRATCH_EN: 0
; COMPUTE_PGM_RSRC2:USER_SGPR: 2
; COMPUTE_PGM_RSRC2:TRAP_HANDLER: 0
; COMPUTE_PGM_RSRC2:TGID_X_EN: 1
; COMPUTE_PGM_RSRC2:TGID_Y_EN: 0
; COMPUTE_PGM_RSRC2:TGID_Z_EN: 0
; COMPUTE_PGM_RSRC2:TIDIG_COMP_CNT: 0
; COMPUTE_PGM_RSRC3_GFX90A:ACCUM_OFFSET: 19
; COMPUTE_PGM_RSRC3_GFX90A:TG_SPLIT: 0
	.section	.text._ZN7rocprim17ROCPRIM_304000_NS6detail31init_lookback_scan_state_kernelINS1_19lookback_scan_stateIiLb1ELb1EEEEEvT_jjPNS5_10value_typeE,"axG",@progbits,_ZN7rocprim17ROCPRIM_304000_NS6detail31init_lookback_scan_state_kernelINS1_19lookback_scan_stateIiLb1ELb1EEEEEvT_jjPNS5_10value_typeE,comdat
	.protected	_ZN7rocprim17ROCPRIM_304000_NS6detail31init_lookback_scan_state_kernelINS1_19lookback_scan_stateIiLb1ELb1EEEEEvT_jjPNS5_10value_typeE ; -- Begin function _ZN7rocprim17ROCPRIM_304000_NS6detail31init_lookback_scan_state_kernelINS1_19lookback_scan_stateIiLb1ELb1EEEEEvT_jjPNS5_10value_typeE
	.globl	_ZN7rocprim17ROCPRIM_304000_NS6detail31init_lookback_scan_state_kernelINS1_19lookback_scan_stateIiLb1ELb1EEEEEvT_jjPNS5_10value_typeE
	.p2align	8
	.type	_ZN7rocprim17ROCPRIM_304000_NS6detail31init_lookback_scan_state_kernelINS1_19lookback_scan_stateIiLb1ELb1EEEEEvT_jjPNS5_10value_typeE,@function
_ZN7rocprim17ROCPRIM_304000_NS6detail31init_lookback_scan_state_kernelINS1_19lookback_scan_stateIiLb1ELb1EEEEEvT_jjPNS5_10value_typeE: ; @_ZN7rocprim17ROCPRIM_304000_NS6detail31init_lookback_scan_state_kernelINS1_19lookback_scan_stateIiLb1ELb1EEEEEvT_jjPNS5_10value_typeE
; %bb.0:
	s_load_dword s3, s[0:1], 0x24
	s_load_dwordx2 s[8:9], s[0:1], 0x10
	s_load_dwordx4 s[4:7], s[0:1], 0x0
	s_waitcnt lgkmcnt(0)
	s_and_b32 s0, s3, 0xffff
	s_mul_i32 s2, s2, s0
	s_cmp_eq_u64 s[8:9], 0
	v_add_u32_e32 v0, s2, v0
	s_cbranch_scc1 .LBB24_9
; %bb.1:
	s_cmp_lt_u32 s7, s6
	s_cselect_b32 s0, s7, 0
	s_mov_b32 s3, 0
	v_cmp_eq_u32_e32 vcc, s0, v0
	s_and_saveexec_b64 s[0:1], vcc
	s_cbranch_execz .LBB24_8
; %bb.2:
	s_add_i32 s2, s7, 64
	s_lshl_b64 s[2:3], s[2:3], 3
	s_add_u32 s2, s4, s2
	s_addc_u32 s3, s5, s3
	v_mov_b32_e32 v2, 0
	global_load_dwordx2 v[4:5], v2, s[2:3] sc1
	s_waitcnt vmcnt(0)
	v_and_b32_e32 v3, 0xff, v5
	v_cmp_ne_u64_e32 vcc, 0, v[2:3]
	s_cbranch_vccnz .LBB24_7
; %bb.3:
	s_mov_b32 s7, 1
.LBB24_4:                               ; =>This Loop Header: Depth=1
                                        ;     Child Loop BB24_5 Depth 2
	s_mov_b32 s10, s7
.LBB24_5:                               ;   Parent Loop BB24_4 Depth=1
                                        ; =>  This Inner Loop Header: Depth=2
	s_add_i32 s10, s10, -1
	s_cmp_eq_u32 s10, 0
	s_sleep 1
	s_cbranch_scc0 .LBB24_5
; %bb.6:                                ;   in Loop: Header=BB24_4 Depth=1
	global_load_dwordx2 v[4:5], v2, s[2:3] sc1
	s_cmp_lt_u32 s7, 32
	s_cselect_b64 s[10:11], -1, 0
	s_cmp_lg_u64 s[10:11], 0
	s_addc_u32 s7, s7, 0
	s_waitcnt vmcnt(0)
	v_and_b32_e32 v3, 0xff, v5
	v_cmp_ne_u64_e32 vcc, 0, v[2:3]
	s_cbranch_vccz .LBB24_4
.LBB24_7:
	v_mov_b32_e32 v1, 0
	global_store_dword v1, v4, s[8:9]
.LBB24_8:
	s_or_b64 exec, exec, s[0:1]
.LBB24_9:
	v_cmp_gt_u32_e32 vcc, s6, v0
	s_and_saveexec_b64 s[0:1], vcc
	s_cbranch_execnz .LBB24_12
; %bb.10:
	s_or_b64 exec, exec, s[0:1]
	v_cmp_gt_u32_e32 vcc, 64, v0
	s_and_saveexec_b64 s[0:1], vcc
	s_cbranch_execnz .LBB24_13
.LBB24_11:
	s_endpgm
.LBB24_12:
	v_add_u32_e32 v2, 64, v0
	v_mov_b32_e32 v3, 0
	v_lshl_add_u64 v[4:5], v[2:3], 3, s[4:5]
	v_mov_b32_e32 v2, v3
	global_store_dwordx2 v[4:5], v[2:3], off
	s_or_b64 exec, exec, s[0:1]
	v_cmp_gt_u32_e32 vcc, 64, v0
	s_and_saveexec_b64 s[0:1], vcc
	s_cbranch_execz .LBB24_11
.LBB24_13:
	v_mov_b32_e32 v1, 0
	v_lshl_add_u64 v[2:3], v[0:1], 3, s[4:5]
	v_mov_b32_e32 v5, 0xff
	v_mov_b32_e32 v4, v1
	global_store_dwordx2 v[2:3], v[4:5], off
	s_endpgm
	.section	.rodata,"a",@progbits
	.p2align	6, 0x0
	.amdhsa_kernel _ZN7rocprim17ROCPRIM_304000_NS6detail31init_lookback_scan_state_kernelINS1_19lookback_scan_stateIiLb1ELb1EEEEEvT_jjPNS5_10value_typeE
		.amdhsa_group_segment_fixed_size 0
		.amdhsa_private_segment_fixed_size 0
		.amdhsa_kernarg_size 280
		.amdhsa_user_sgpr_count 2
		.amdhsa_user_sgpr_dispatch_ptr 0
		.amdhsa_user_sgpr_queue_ptr 0
		.amdhsa_user_sgpr_kernarg_segment_ptr 1
		.amdhsa_user_sgpr_dispatch_id 0
		.amdhsa_user_sgpr_kernarg_preload_length 0
		.amdhsa_user_sgpr_kernarg_preload_offset 0
		.amdhsa_user_sgpr_private_segment_size 0
		.amdhsa_uses_dynamic_stack 0
		.amdhsa_enable_private_segment 0
		.amdhsa_system_sgpr_workgroup_id_x 1
		.amdhsa_system_sgpr_workgroup_id_y 0
		.amdhsa_system_sgpr_workgroup_id_z 0
		.amdhsa_system_sgpr_workgroup_info 0
		.amdhsa_system_vgpr_workitem_id 0
		.amdhsa_next_free_vgpr 6
		.amdhsa_next_free_sgpr 12
		.amdhsa_accum_offset 8
		.amdhsa_reserve_vcc 1
		.amdhsa_float_round_mode_32 0
		.amdhsa_float_round_mode_16_64 0
		.amdhsa_float_denorm_mode_32 3
		.amdhsa_float_denorm_mode_16_64 3
		.amdhsa_dx10_clamp 1
		.amdhsa_ieee_mode 1
		.amdhsa_fp16_overflow 0
		.amdhsa_tg_split 0
		.amdhsa_exception_fp_ieee_invalid_op 0
		.amdhsa_exception_fp_denorm_src 0
		.amdhsa_exception_fp_ieee_div_zero 0
		.amdhsa_exception_fp_ieee_overflow 0
		.amdhsa_exception_fp_ieee_underflow 0
		.amdhsa_exception_fp_ieee_inexact 0
		.amdhsa_exception_int_div_zero 0
	.end_amdhsa_kernel
	.section	.text._ZN7rocprim17ROCPRIM_304000_NS6detail31init_lookback_scan_state_kernelINS1_19lookback_scan_stateIiLb1ELb1EEEEEvT_jjPNS5_10value_typeE,"axG",@progbits,_ZN7rocprim17ROCPRIM_304000_NS6detail31init_lookback_scan_state_kernelINS1_19lookback_scan_stateIiLb1ELb1EEEEEvT_jjPNS5_10value_typeE,comdat
.Lfunc_end24:
	.size	_ZN7rocprim17ROCPRIM_304000_NS6detail31init_lookback_scan_state_kernelINS1_19lookback_scan_stateIiLb1ELb1EEEEEvT_jjPNS5_10value_typeE, .Lfunc_end24-_ZN7rocprim17ROCPRIM_304000_NS6detail31init_lookback_scan_state_kernelINS1_19lookback_scan_stateIiLb1ELb1EEEEEvT_jjPNS5_10value_typeE
                                        ; -- End function
	.set _ZN7rocprim17ROCPRIM_304000_NS6detail31init_lookback_scan_state_kernelINS1_19lookback_scan_stateIiLb1ELb1EEEEEvT_jjPNS5_10value_typeE.num_vgpr, 6
	.set _ZN7rocprim17ROCPRIM_304000_NS6detail31init_lookback_scan_state_kernelINS1_19lookback_scan_stateIiLb1ELb1EEEEEvT_jjPNS5_10value_typeE.num_agpr, 0
	.set _ZN7rocprim17ROCPRIM_304000_NS6detail31init_lookback_scan_state_kernelINS1_19lookback_scan_stateIiLb1ELb1EEEEEvT_jjPNS5_10value_typeE.numbered_sgpr, 12
	.set _ZN7rocprim17ROCPRIM_304000_NS6detail31init_lookback_scan_state_kernelINS1_19lookback_scan_stateIiLb1ELb1EEEEEvT_jjPNS5_10value_typeE.num_named_barrier, 0
	.set _ZN7rocprim17ROCPRIM_304000_NS6detail31init_lookback_scan_state_kernelINS1_19lookback_scan_stateIiLb1ELb1EEEEEvT_jjPNS5_10value_typeE.private_seg_size, 0
	.set _ZN7rocprim17ROCPRIM_304000_NS6detail31init_lookback_scan_state_kernelINS1_19lookback_scan_stateIiLb1ELb1EEEEEvT_jjPNS5_10value_typeE.uses_vcc, 1
	.set _ZN7rocprim17ROCPRIM_304000_NS6detail31init_lookback_scan_state_kernelINS1_19lookback_scan_stateIiLb1ELb1EEEEEvT_jjPNS5_10value_typeE.uses_flat_scratch, 0
	.set _ZN7rocprim17ROCPRIM_304000_NS6detail31init_lookback_scan_state_kernelINS1_19lookback_scan_stateIiLb1ELb1EEEEEvT_jjPNS5_10value_typeE.has_dyn_sized_stack, 0
	.set _ZN7rocprim17ROCPRIM_304000_NS6detail31init_lookback_scan_state_kernelINS1_19lookback_scan_stateIiLb1ELb1EEEEEvT_jjPNS5_10value_typeE.has_recursion, 0
	.set _ZN7rocprim17ROCPRIM_304000_NS6detail31init_lookback_scan_state_kernelINS1_19lookback_scan_stateIiLb1ELb1EEEEEvT_jjPNS5_10value_typeE.has_indirect_call, 0
	.section	.AMDGPU.csdata,"",@progbits
; Kernel info:
; codeLenInByte = 320
; TotalNumSgprs: 18
; NumVgprs: 6
; NumAgprs: 0
; TotalNumVgprs: 6
; ScratchSize: 0
; MemoryBound: 0
; FloatMode: 240
; IeeeMode: 1
; LDSByteSize: 0 bytes/workgroup (compile time only)
; SGPRBlocks: 2
; VGPRBlocks: 0
; NumSGPRsForWavesPerEU: 18
; NumVGPRsForWavesPerEU: 6
; AccumOffset: 8
; Occupancy: 8
; WaveLimiterHint : 0
; COMPUTE_PGM_RSRC2:SCRATCH_EN: 0
; COMPUTE_PGM_RSRC2:USER_SGPR: 2
; COMPUTE_PGM_RSRC2:TRAP_HANDLER: 0
; COMPUTE_PGM_RSRC2:TGID_X_EN: 1
; COMPUTE_PGM_RSRC2:TGID_Y_EN: 0
; COMPUTE_PGM_RSRC2:TGID_Z_EN: 0
; COMPUTE_PGM_RSRC2:TIDIG_COMP_CNT: 0
; COMPUTE_PGM_RSRC3_GFX90A:ACCUM_OFFSET: 1
; COMPUTE_PGM_RSRC3_GFX90A:TG_SPLIT: 0
	.section	.text._ZN7rocprim17ROCPRIM_304000_NS6detail31init_lookback_scan_state_kernelINS1_19lookback_scan_stateIiLb0ELb1EEEEEvT_jjPNS5_10value_typeE,"axG",@progbits,_ZN7rocprim17ROCPRIM_304000_NS6detail31init_lookback_scan_state_kernelINS1_19lookback_scan_stateIiLb0ELb1EEEEEvT_jjPNS5_10value_typeE,comdat
	.protected	_ZN7rocprim17ROCPRIM_304000_NS6detail31init_lookback_scan_state_kernelINS1_19lookback_scan_stateIiLb0ELb1EEEEEvT_jjPNS5_10value_typeE ; -- Begin function _ZN7rocprim17ROCPRIM_304000_NS6detail31init_lookback_scan_state_kernelINS1_19lookback_scan_stateIiLb0ELb1EEEEEvT_jjPNS5_10value_typeE
	.globl	_ZN7rocprim17ROCPRIM_304000_NS6detail31init_lookback_scan_state_kernelINS1_19lookback_scan_stateIiLb0ELb1EEEEEvT_jjPNS5_10value_typeE
	.p2align	8
	.type	_ZN7rocprim17ROCPRIM_304000_NS6detail31init_lookback_scan_state_kernelINS1_19lookback_scan_stateIiLb0ELb1EEEEEvT_jjPNS5_10value_typeE,@function
_ZN7rocprim17ROCPRIM_304000_NS6detail31init_lookback_scan_state_kernelINS1_19lookback_scan_stateIiLb0ELb1EEEEEvT_jjPNS5_10value_typeE: ; @_ZN7rocprim17ROCPRIM_304000_NS6detail31init_lookback_scan_state_kernelINS1_19lookback_scan_stateIiLb0ELb1EEEEEvT_jjPNS5_10value_typeE
; %bb.0:
	s_load_dword s3, s[0:1], 0x24
	s_load_dwordx2 s[8:9], s[0:1], 0x10
	s_load_dwordx4 s[4:7], s[0:1], 0x0
	s_waitcnt lgkmcnt(0)
	s_and_b32 s0, s3, 0xffff
	s_mul_i32 s2, s2, s0
	s_cmp_eq_u64 s[8:9], 0
	v_add_u32_e32 v0, s2, v0
	s_cbranch_scc1 .LBB25_6
; %bb.1:
	s_cmp_lt_u32 s7, s6
	s_cselect_b32 s0, s7, 0
	s_mov_b32 s3, 0
	v_cmp_eq_u32_e32 vcc, s0, v0
	s_and_saveexec_b64 s[0:1], vcc
	s_cbranch_execz .LBB25_5
; %bb.2:
	s_add_i32 s2, s7, 64
	s_lshl_b64 s[2:3], s[2:3], 3
	s_add_u32 s2, s4, s2
	s_addc_u32 s3, s5, s3
	v_mov_b32_e32 v4, 0
	global_load_dwordx2 v[2:3], v4, s[2:3] sc1
	s_waitcnt vmcnt(0)
	v_and_b32_e32 v5, 0xff, v3
	v_cmp_ne_u64_e32 vcc, 0, v[4:5]
	s_cbranch_vccnz .LBB25_4
.LBB25_3:                               ; =>This Inner Loop Header: Depth=1
	global_load_dwordx2 v[2:3], v4, s[2:3] sc1
	s_waitcnt vmcnt(0)
	v_and_b32_e32 v5, 0xff, v3
	v_cmp_eq_u64_e32 vcc, 0, v[4:5]
	s_cbranch_vccnz .LBB25_3
.LBB25_4:
	v_mov_b32_e32 v1, 0
	global_store_dword v1, v2, s[8:9]
.LBB25_5:
	s_or_b64 exec, exec, s[0:1]
.LBB25_6:
	v_cmp_gt_u32_e32 vcc, s6, v0
	s_and_saveexec_b64 s[0:1], vcc
	s_cbranch_execnz .LBB25_9
; %bb.7:
	s_or_b64 exec, exec, s[0:1]
	v_cmp_gt_u32_e32 vcc, 64, v0
	s_and_saveexec_b64 s[0:1], vcc
	s_cbranch_execnz .LBB25_10
.LBB25_8:
	s_endpgm
.LBB25_9:
	v_add_u32_e32 v2, 64, v0
	v_mov_b32_e32 v3, 0
	v_lshl_add_u64 v[4:5], v[2:3], 3, s[4:5]
	v_mov_b32_e32 v2, v3
	global_store_dwordx2 v[4:5], v[2:3], off
	s_or_b64 exec, exec, s[0:1]
	v_cmp_gt_u32_e32 vcc, 64, v0
	s_and_saveexec_b64 s[0:1], vcc
	s_cbranch_execz .LBB25_8
.LBB25_10:
	v_mov_b32_e32 v1, 0
	v_lshl_add_u64 v[2:3], v[0:1], 3, s[4:5]
	v_mov_b32_e32 v5, 0xff
	v_mov_b32_e32 v4, v1
	global_store_dwordx2 v[2:3], v[4:5], off
	s_endpgm
	.section	.rodata,"a",@progbits
	.p2align	6, 0x0
	.amdhsa_kernel _ZN7rocprim17ROCPRIM_304000_NS6detail31init_lookback_scan_state_kernelINS1_19lookback_scan_stateIiLb0ELb1EEEEEvT_jjPNS5_10value_typeE
		.amdhsa_group_segment_fixed_size 0
		.amdhsa_private_segment_fixed_size 0
		.amdhsa_kernarg_size 280
		.amdhsa_user_sgpr_count 2
		.amdhsa_user_sgpr_dispatch_ptr 0
		.amdhsa_user_sgpr_queue_ptr 0
		.amdhsa_user_sgpr_kernarg_segment_ptr 1
		.amdhsa_user_sgpr_dispatch_id 0
		.amdhsa_user_sgpr_kernarg_preload_length 0
		.amdhsa_user_sgpr_kernarg_preload_offset 0
		.amdhsa_user_sgpr_private_segment_size 0
		.amdhsa_uses_dynamic_stack 0
		.amdhsa_enable_private_segment 0
		.amdhsa_system_sgpr_workgroup_id_x 1
		.amdhsa_system_sgpr_workgroup_id_y 0
		.amdhsa_system_sgpr_workgroup_id_z 0
		.amdhsa_system_sgpr_workgroup_info 0
		.amdhsa_system_vgpr_workitem_id 0
		.amdhsa_next_free_vgpr 6
		.amdhsa_next_free_sgpr 10
		.amdhsa_accum_offset 8
		.amdhsa_reserve_vcc 1
		.amdhsa_float_round_mode_32 0
		.amdhsa_float_round_mode_16_64 0
		.amdhsa_float_denorm_mode_32 3
		.amdhsa_float_denorm_mode_16_64 3
		.amdhsa_dx10_clamp 1
		.amdhsa_ieee_mode 1
		.amdhsa_fp16_overflow 0
		.amdhsa_tg_split 0
		.amdhsa_exception_fp_ieee_invalid_op 0
		.amdhsa_exception_fp_denorm_src 0
		.amdhsa_exception_fp_ieee_div_zero 0
		.amdhsa_exception_fp_ieee_overflow 0
		.amdhsa_exception_fp_ieee_underflow 0
		.amdhsa_exception_fp_ieee_inexact 0
		.amdhsa_exception_int_div_zero 0
	.end_amdhsa_kernel
	.section	.text._ZN7rocprim17ROCPRIM_304000_NS6detail31init_lookback_scan_state_kernelINS1_19lookback_scan_stateIiLb0ELb1EEEEEvT_jjPNS5_10value_typeE,"axG",@progbits,_ZN7rocprim17ROCPRIM_304000_NS6detail31init_lookback_scan_state_kernelINS1_19lookback_scan_stateIiLb0ELb1EEEEEvT_jjPNS5_10value_typeE,comdat
.Lfunc_end25:
	.size	_ZN7rocprim17ROCPRIM_304000_NS6detail31init_lookback_scan_state_kernelINS1_19lookback_scan_stateIiLb0ELb1EEEEEvT_jjPNS5_10value_typeE, .Lfunc_end25-_ZN7rocprim17ROCPRIM_304000_NS6detail31init_lookback_scan_state_kernelINS1_19lookback_scan_stateIiLb0ELb1EEEEEvT_jjPNS5_10value_typeE
                                        ; -- End function
	.set _ZN7rocprim17ROCPRIM_304000_NS6detail31init_lookback_scan_state_kernelINS1_19lookback_scan_stateIiLb0ELb1EEEEEvT_jjPNS5_10value_typeE.num_vgpr, 6
	.set _ZN7rocprim17ROCPRIM_304000_NS6detail31init_lookback_scan_state_kernelINS1_19lookback_scan_stateIiLb0ELb1EEEEEvT_jjPNS5_10value_typeE.num_agpr, 0
	.set _ZN7rocprim17ROCPRIM_304000_NS6detail31init_lookback_scan_state_kernelINS1_19lookback_scan_stateIiLb0ELb1EEEEEvT_jjPNS5_10value_typeE.numbered_sgpr, 10
	.set _ZN7rocprim17ROCPRIM_304000_NS6detail31init_lookback_scan_state_kernelINS1_19lookback_scan_stateIiLb0ELb1EEEEEvT_jjPNS5_10value_typeE.num_named_barrier, 0
	.set _ZN7rocprim17ROCPRIM_304000_NS6detail31init_lookback_scan_state_kernelINS1_19lookback_scan_stateIiLb0ELb1EEEEEvT_jjPNS5_10value_typeE.private_seg_size, 0
	.set _ZN7rocprim17ROCPRIM_304000_NS6detail31init_lookback_scan_state_kernelINS1_19lookback_scan_stateIiLb0ELb1EEEEEvT_jjPNS5_10value_typeE.uses_vcc, 1
	.set _ZN7rocprim17ROCPRIM_304000_NS6detail31init_lookback_scan_state_kernelINS1_19lookback_scan_stateIiLb0ELb1EEEEEvT_jjPNS5_10value_typeE.uses_flat_scratch, 0
	.set _ZN7rocprim17ROCPRIM_304000_NS6detail31init_lookback_scan_state_kernelINS1_19lookback_scan_stateIiLb0ELb1EEEEEvT_jjPNS5_10value_typeE.has_dyn_sized_stack, 0
	.set _ZN7rocprim17ROCPRIM_304000_NS6detail31init_lookback_scan_state_kernelINS1_19lookback_scan_stateIiLb0ELb1EEEEEvT_jjPNS5_10value_typeE.has_recursion, 0
	.set _ZN7rocprim17ROCPRIM_304000_NS6detail31init_lookback_scan_state_kernelINS1_19lookback_scan_stateIiLb0ELb1EEEEEvT_jjPNS5_10value_typeE.has_indirect_call, 0
	.section	.AMDGPU.csdata,"",@progbits
; Kernel info:
; codeLenInByte = 280
; TotalNumSgprs: 16
; NumVgprs: 6
; NumAgprs: 0
; TotalNumVgprs: 6
; ScratchSize: 0
; MemoryBound: 0
; FloatMode: 240
; IeeeMode: 1
; LDSByteSize: 0 bytes/workgroup (compile time only)
; SGPRBlocks: 1
; VGPRBlocks: 0
; NumSGPRsForWavesPerEU: 16
; NumVGPRsForWavesPerEU: 6
; AccumOffset: 8
; Occupancy: 8
; WaveLimiterHint : 0
; COMPUTE_PGM_RSRC2:SCRATCH_EN: 0
; COMPUTE_PGM_RSRC2:USER_SGPR: 2
; COMPUTE_PGM_RSRC2:TRAP_HANDLER: 0
; COMPUTE_PGM_RSRC2:TGID_X_EN: 1
; COMPUTE_PGM_RSRC2:TGID_Y_EN: 0
; COMPUTE_PGM_RSRC2:TGID_Z_EN: 0
; COMPUTE_PGM_RSRC2:TIDIG_COMP_CNT: 0
; COMPUTE_PGM_RSRC3_GFX90A:ACCUM_OFFSET: 1
; COMPUTE_PGM_RSRC3_GFX90A:TG_SPLIT: 0
	.section	.text._ZN7rocprim17ROCPRIM_304000_NS6detail20lookback_scan_kernelILNS1_25lookback_scan_determinismE0ELb0ENS1_19wrapped_scan_configINS0_14default_configEiEEPKiPiSt4plusIiEiiNS1_19lookback_scan_stateIiLb1ELb1EEEEEvT2_T3_mT5_T4_T7_jPT6_SK_bb,"axG",@progbits,_ZN7rocprim17ROCPRIM_304000_NS6detail20lookback_scan_kernelILNS1_25lookback_scan_determinismE0ELb0ENS1_19wrapped_scan_configINS0_14default_configEiEEPKiPiSt4plusIiEiiNS1_19lookback_scan_stateIiLb1ELb1EEEEEvT2_T3_mT5_T4_T7_jPT6_SK_bb,comdat
	.protected	_ZN7rocprim17ROCPRIM_304000_NS6detail20lookback_scan_kernelILNS1_25lookback_scan_determinismE0ELb0ENS1_19wrapped_scan_configINS0_14default_configEiEEPKiPiSt4plusIiEiiNS1_19lookback_scan_stateIiLb1ELb1EEEEEvT2_T3_mT5_T4_T7_jPT6_SK_bb ; -- Begin function _ZN7rocprim17ROCPRIM_304000_NS6detail20lookback_scan_kernelILNS1_25lookback_scan_determinismE0ELb0ENS1_19wrapped_scan_configINS0_14default_configEiEEPKiPiSt4plusIiEiiNS1_19lookback_scan_stateIiLb1ELb1EEEEEvT2_T3_mT5_T4_T7_jPT6_SK_bb
	.globl	_ZN7rocprim17ROCPRIM_304000_NS6detail20lookback_scan_kernelILNS1_25lookback_scan_determinismE0ELb0ENS1_19wrapped_scan_configINS0_14default_configEiEEPKiPiSt4plusIiEiiNS1_19lookback_scan_stateIiLb1ELb1EEEEEvT2_T3_mT5_T4_T7_jPT6_SK_bb
	.p2align	8
	.type	_ZN7rocprim17ROCPRIM_304000_NS6detail20lookback_scan_kernelILNS1_25lookback_scan_determinismE0ELb0ENS1_19wrapped_scan_configINS0_14default_configEiEEPKiPiSt4plusIiEiiNS1_19lookback_scan_stateIiLb1ELb1EEEEEvT2_T3_mT5_T4_T7_jPT6_SK_bb,@function
_ZN7rocprim17ROCPRIM_304000_NS6detail20lookback_scan_kernelILNS1_25lookback_scan_determinismE0ELb0ENS1_19wrapped_scan_configINS0_14default_configEiEEPKiPiSt4plusIiEiiNS1_19lookback_scan_stateIiLb1ELb1EEEEEvT2_T3_mT5_T4_T7_jPT6_SK_bb: ; @_ZN7rocprim17ROCPRIM_304000_NS6detail20lookback_scan_kernelILNS1_25lookback_scan_determinismE0ELb0ENS1_19wrapped_scan_configINS0_14default_configEiEEPKiPiSt4plusIiEiiNS1_19lookback_scan_stateIiLb1ELb1EEEEEvT2_T3_mT5_T4_T7_jPT6_SK_bb
; %bb.0:
	s_endpgm
	.section	.rodata,"a",@progbits
	.p2align	6, 0x0
	.amdhsa_kernel _ZN7rocprim17ROCPRIM_304000_NS6detail20lookback_scan_kernelILNS1_25lookback_scan_determinismE0ELb0ENS1_19wrapped_scan_configINS0_14default_configEiEEPKiPiSt4plusIiEiiNS1_19lookback_scan_stateIiLb1ELb1EEEEEvT2_T3_mT5_T4_T7_jPT6_SK_bb
		.amdhsa_group_segment_fixed_size 0
		.amdhsa_private_segment_fixed_size 0
		.amdhsa_kernarg_size 68
		.amdhsa_user_sgpr_count 2
		.amdhsa_user_sgpr_dispatch_ptr 0
		.amdhsa_user_sgpr_queue_ptr 0
		.amdhsa_user_sgpr_kernarg_segment_ptr 1
		.amdhsa_user_sgpr_dispatch_id 0
		.amdhsa_user_sgpr_kernarg_preload_length 0
		.amdhsa_user_sgpr_kernarg_preload_offset 0
		.amdhsa_user_sgpr_private_segment_size 0
		.amdhsa_uses_dynamic_stack 0
		.amdhsa_enable_private_segment 0
		.amdhsa_system_sgpr_workgroup_id_x 1
		.amdhsa_system_sgpr_workgroup_id_y 0
		.amdhsa_system_sgpr_workgroup_id_z 0
		.amdhsa_system_sgpr_workgroup_info 0
		.amdhsa_system_vgpr_workitem_id 0
		.amdhsa_next_free_vgpr 1
		.amdhsa_next_free_sgpr 0
		.amdhsa_accum_offset 4
		.amdhsa_reserve_vcc 0
		.amdhsa_float_round_mode_32 0
		.amdhsa_float_round_mode_16_64 0
		.amdhsa_float_denorm_mode_32 3
		.amdhsa_float_denorm_mode_16_64 3
		.amdhsa_dx10_clamp 1
		.amdhsa_ieee_mode 1
		.amdhsa_fp16_overflow 0
		.amdhsa_tg_split 0
		.amdhsa_exception_fp_ieee_invalid_op 0
		.amdhsa_exception_fp_denorm_src 0
		.amdhsa_exception_fp_ieee_div_zero 0
		.amdhsa_exception_fp_ieee_overflow 0
		.amdhsa_exception_fp_ieee_underflow 0
		.amdhsa_exception_fp_ieee_inexact 0
		.amdhsa_exception_int_div_zero 0
	.end_amdhsa_kernel
	.section	.text._ZN7rocprim17ROCPRIM_304000_NS6detail20lookback_scan_kernelILNS1_25lookback_scan_determinismE0ELb0ENS1_19wrapped_scan_configINS0_14default_configEiEEPKiPiSt4plusIiEiiNS1_19lookback_scan_stateIiLb1ELb1EEEEEvT2_T3_mT5_T4_T7_jPT6_SK_bb,"axG",@progbits,_ZN7rocprim17ROCPRIM_304000_NS6detail20lookback_scan_kernelILNS1_25lookback_scan_determinismE0ELb0ENS1_19wrapped_scan_configINS0_14default_configEiEEPKiPiSt4plusIiEiiNS1_19lookback_scan_stateIiLb1ELb1EEEEEvT2_T3_mT5_T4_T7_jPT6_SK_bb,comdat
.Lfunc_end26:
	.size	_ZN7rocprim17ROCPRIM_304000_NS6detail20lookback_scan_kernelILNS1_25lookback_scan_determinismE0ELb0ENS1_19wrapped_scan_configINS0_14default_configEiEEPKiPiSt4plusIiEiiNS1_19lookback_scan_stateIiLb1ELb1EEEEEvT2_T3_mT5_T4_T7_jPT6_SK_bb, .Lfunc_end26-_ZN7rocprim17ROCPRIM_304000_NS6detail20lookback_scan_kernelILNS1_25lookback_scan_determinismE0ELb0ENS1_19wrapped_scan_configINS0_14default_configEiEEPKiPiSt4plusIiEiiNS1_19lookback_scan_stateIiLb1ELb1EEEEEvT2_T3_mT5_T4_T7_jPT6_SK_bb
                                        ; -- End function
	.set _ZN7rocprim17ROCPRIM_304000_NS6detail20lookback_scan_kernelILNS1_25lookback_scan_determinismE0ELb0ENS1_19wrapped_scan_configINS0_14default_configEiEEPKiPiSt4plusIiEiiNS1_19lookback_scan_stateIiLb1ELb1EEEEEvT2_T3_mT5_T4_T7_jPT6_SK_bb.num_vgpr, 0
	.set _ZN7rocprim17ROCPRIM_304000_NS6detail20lookback_scan_kernelILNS1_25lookback_scan_determinismE0ELb0ENS1_19wrapped_scan_configINS0_14default_configEiEEPKiPiSt4plusIiEiiNS1_19lookback_scan_stateIiLb1ELb1EEEEEvT2_T3_mT5_T4_T7_jPT6_SK_bb.num_agpr, 0
	.set _ZN7rocprim17ROCPRIM_304000_NS6detail20lookback_scan_kernelILNS1_25lookback_scan_determinismE0ELb0ENS1_19wrapped_scan_configINS0_14default_configEiEEPKiPiSt4plusIiEiiNS1_19lookback_scan_stateIiLb1ELb1EEEEEvT2_T3_mT5_T4_T7_jPT6_SK_bb.numbered_sgpr, 0
	.set _ZN7rocprim17ROCPRIM_304000_NS6detail20lookback_scan_kernelILNS1_25lookback_scan_determinismE0ELb0ENS1_19wrapped_scan_configINS0_14default_configEiEEPKiPiSt4plusIiEiiNS1_19lookback_scan_stateIiLb1ELb1EEEEEvT2_T3_mT5_T4_T7_jPT6_SK_bb.num_named_barrier, 0
	.set _ZN7rocprim17ROCPRIM_304000_NS6detail20lookback_scan_kernelILNS1_25lookback_scan_determinismE0ELb0ENS1_19wrapped_scan_configINS0_14default_configEiEEPKiPiSt4plusIiEiiNS1_19lookback_scan_stateIiLb1ELb1EEEEEvT2_T3_mT5_T4_T7_jPT6_SK_bb.private_seg_size, 0
	.set _ZN7rocprim17ROCPRIM_304000_NS6detail20lookback_scan_kernelILNS1_25lookback_scan_determinismE0ELb0ENS1_19wrapped_scan_configINS0_14default_configEiEEPKiPiSt4plusIiEiiNS1_19lookback_scan_stateIiLb1ELb1EEEEEvT2_T3_mT5_T4_T7_jPT6_SK_bb.uses_vcc, 0
	.set _ZN7rocprim17ROCPRIM_304000_NS6detail20lookback_scan_kernelILNS1_25lookback_scan_determinismE0ELb0ENS1_19wrapped_scan_configINS0_14default_configEiEEPKiPiSt4plusIiEiiNS1_19lookback_scan_stateIiLb1ELb1EEEEEvT2_T3_mT5_T4_T7_jPT6_SK_bb.uses_flat_scratch, 0
	.set _ZN7rocprim17ROCPRIM_304000_NS6detail20lookback_scan_kernelILNS1_25lookback_scan_determinismE0ELb0ENS1_19wrapped_scan_configINS0_14default_configEiEEPKiPiSt4plusIiEiiNS1_19lookback_scan_stateIiLb1ELb1EEEEEvT2_T3_mT5_T4_T7_jPT6_SK_bb.has_dyn_sized_stack, 0
	.set _ZN7rocprim17ROCPRIM_304000_NS6detail20lookback_scan_kernelILNS1_25lookback_scan_determinismE0ELb0ENS1_19wrapped_scan_configINS0_14default_configEiEEPKiPiSt4plusIiEiiNS1_19lookback_scan_stateIiLb1ELb1EEEEEvT2_T3_mT5_T4_T7_jPT6_SK_bb.has_recursion, 0
	.set _ZN7rocprim17ROCPRIM_304000_NS6detail20lookback_scan_kernelILNS1_25lookback_scan_determinismE0ELb0ENS1_19wrapped_scan_configINS0_14default_configEiEEPKiPiSt4plusIiEiiNS1_19lookback_scan_stateIiLb1ELb1EEEEEvT2_T3_mT5_T4_T7_jPT6_SK_bb.has_indirect_call, 0
	.section	.AMDGPU.csdata,"",@progbits
; Kernel info:
; codeLenInByte = 4
; TotalNumSgprs: 6
; NumVgprs: 0
; NumAgprs: 0
; TotalNumVgprs: 0
; ScratchSize: 0
; MemoryBound: 0
; FloatMode: 240
; IeeeMode: 1
; LDSByteSize: 0 bytes/workgroup (compile time only)
; SGPRBlocks: 0
; VGPRBlocks: 0
; NumSGPRsForWavesPerEU: 6
; NumVGPRsForWavesPerEU: 1
; AccumOffset: 4
; Occupancy: 8
; WaveLimiterHint : 0
; COMPUTE_PGM_RSRC2:SCRATCH_EN: 0
; COMPUTE_PGM_RSRC2:USER_SGPR: 2
; COMPUTE_PGM_RSRC2:TRAP_HANDLER: 0
; COMPUTE_PGM_RSRC2:TGID_X_EN: 1
; COMPUTE_PGM_RSRC2:TGID_Y_EN: 0
; COMPUTE_PGM_RSRC2:TGID_Z_EN: 0
; COMPUTE_PGM_RSRC2:TIDIG_COMP_CNT: 0
; COMPUTE_PGM_RSRC3_GFX90A:ACCUM_OFFSET: 0
; COMPUTE_PGM_RSRC3_GFX90A:TG_SPLIT: 0
	.section	.text._ZN7rocprim17ROCPRIM_304000_NS6detail20lookback_scan_kernelILNS1_25lookback_scan_determinismE0ELb0ENS1_19wrapped_scan_configINS0_14default_configEiEEPKiPiSt4plusIiEiiNS1_19lookback_scan_stateIiLb0ELb1EEEEEvT2_T3_mT5_T4_T7_jPT6_SK_bb,"axG",@progbits,_ZN7rocprim17ROCPRIM_304000_NS6detail20lookback_scan_kernelILNS1_25lookback_scan_determinismE0ELb0ENS1_19wrapped_scan_configINS0_14default_configEiEEPKiPiSt4plusIiEiiNS1_19lookback_scan_stateIiLb0ELb1EEEEEvT2_T3_mT5_T4_T7_jPT6_SK_bb,comdat
	.protected	_ZN7rocprim17ROCPRIM_304000_NS6detail20lookback_scan_kernelILNS1_25lookback_scan_determinismE0ELb0ENS1_19wrapped_scan_configINS0_14default_configEiEEPKiPiSt4plusIiEiiNS1_19lookback_scan_stateIiLb0ELb1EEEEEvT2_T3_mT5_T4_T7_jPT6_SK_bb ; -- Begin function _ZN7rocprim17ROCPRIM_304000_NS6detail20lookback_scan_kernelILNS1_25lookback_scan_determinismE0ELb0ENS1_19wrapped_scan_configINS0_14default_configEiEEPKiPiSt4plusIiEiiNS1_19lookback_scan_stateIiLb0ELb1EEEEEvT2_T3_mT5_T4_T7_jPT6_SK_bb
	.globl	_ZN7rocprim17ROCPRIM_304000_NS6detail20lookback_scan_kernelILNS1_25lookback_scan_determinismE0ELb0ENS1_19wrapped_scan_configINS0_14default_configEiEEPKiPiSt4plusIiEiiNS1_19lookback_scan_stateIiLb0ELb1EEEEEvT2_T3_mT5_T4_T7_jPT6_SK_bb
	.p2align	8
	.type	_ZN7rocprim17ROCPRIM_304000_NS6detail20lookback_scan_kernelILNS1_25lookback_scan_determinismE0ELb0ENS1_19wrapped_scan_configINS0_14default_configEiEEPKiPiSt4plusIiEiiNS1_19lookback_scan_stateIiLb0ELb1EEEEEvT2_T3_mT5_T4_T7_jPT6_SK_bb,@function
_ZN7rocprim17ROCPRIM_304000_NS6detail20lookback_scan_kernelILNS1_25lookback_scan_determinismE0ELb0ENS1_19wrapped_scan_configINS0_14default_configEiEEPKiPiSt4plusIiEiiNS1_19lookback_scan_stateIiLb0ELb1EEEEEvT2_T3_mT5_T4_T7_jPT6_SK_bb: ; @_ZN7rocprim17ROCPRIM_304000_NS6detail20lookback_scan_kernelILNS1_25lookback_scan_determinismE0ELb0ENS1_19wrapped_scan_configINS0_14default_configEiEEPKiPiSt4plusIiEiiNS1_19lookback_scan_stateIiLb0ELb1EEEEEvT2_T3_mT5_T4_T7_jPT6_SK_bb
; %bb.0:
	s_load_dword s3, s[0:1], 0x28
	s_load_dwordx4 s[20:23], s[0:1], 0x0
	s_load_dwordx2 s[4:5], s[0:1], 0x10
	s_mul_i32 s6, s2, 0xe00
	s_mov_b32 s7, 0
	s_waitcnt lgkmcnt(0)
	s_add_i32 s3, s3, -1
	s_mul_i32 s8, s3, 0xe00
	s_sub_u32 s28, s4, s8
	s_subb_u32 s29, s5, 0
	s_cmp_lg_u32 s2, s3
	s_cselect_b64 s[24:25], -1, 0
	s_lshl_b64 s[26:27], s[6:7], 2
	s_add_u32 s6, s20, s26
	s_addc_u32 s7, s21, s27
	s_mov_b64 s[4:5], -1
	s_and_b64 vcc, exec, s[24:25]
	v_lshlrev_b32_e32 v30, 2, v0
	s_cbranch_vccz .LBB27_2
; %bb.1:
	v_mov_b32_e32 v31, 0
	v_lshl_add_u64 v[2:3], s[6:7], 0, v[30:31]
	v_add_co_u32_e32 v4, vcc, 0x1000, v2
	global_load_dword v1, v30, s[6:7]
	global_load_dword v8, v30, s[6:7] offset:1024
	global_load_dword v9, v30, s[6:7] offset:2048
	;; [unrolled: 1-line block ×3, first 2 shown]
	v_addc_co_u32_e32 v5, vcc, 0, v3, vcc
	v_add_co_u32_e32 v6, vcc, 0x2000, v2
	s_mov_b64 s[4:5], 0
	s_nop 0
	v_addc_co_u32_e32 v7, vcc, 0, v3, vcc
	v_add_co_u32_e32 v2, vcc, 0x3000, v2
	global_load_dword v11, v[4:5], off
	global_load_dword v12, v[4:5], off offset:1024
	global_load_dword v13, v[4:5], off offset:2048
	;; [unrolled: 1-line block ×3, first 2 shown]
	global_load_dword v15, v[6:7], off
	global_load_dword v16, v[6:7], off offset:1024
	global_load_dword v17, v[6:7], off offset:2048
	;; [unrolled: 1-line block ×3, first 2 shown]
	v_addc_co_u32_e32 v3, vcc, 0, v3, vcc
	global_load_dword v4, v[2:3], off
	global_load_dword v5, v[2:3], off offset:1024
	s_waitcnt vmcnt(12)
	ds_write2st64_b32 v30, v1, v8 offset1:4
	s_waitcnt vmcnt(10)
	ds_write2st64_b32 v30, v9, v10 offset0:8 offset1:12
	s_waitcnt vmcnt(8)
	ds_write2st64_b32 v30, v11, v12 offset0:16 offset1:20
	;; [unrolled: 2-line block ×6, first 2 shown]
	s_waitcnt lgkmcnt(0)
	s_barrier
.LBB27_2:
	s_andn2_b64 vcc, exec, s[4:5]
	v_cmp_gt_u32_e64 s[4:5], s28, v0
	s_cbranch_vccnz .LBB27_32
; %bb.3:
	s_load_dword s8, s[6:7], 0x0
	v_mov_b32_e32 v31, 0
	v_lshl_add_u64 v[18:19], s[6:7], 0, v[30:31]
	s_waitcnt lgkmcnt(0)
	s_mov_b32 s9, s8
	s_mov_b32 s10, s8
	;; [unrolled: 1-line block ×13, first 2 shown]
	v_mov_b64_e32 v[2:3], s[8:9]
	v_mov_b64_e32 v[4:5], s[10:11]
	;; [unrolled: 1-line block ×7, first 2 shown]
	v_mov_b32_e32 v1, s8
	v_mov_b64_e32 v[16:17], s[22:23]
	s_and_saveexec_b64 s[6:7], s[4:5]
	s_cbranch_execz .LBB27_5
; %bb.4:
	global_load_dword v1, v[18:19], off
	v_mov_b32_e32 v3, s8
	v_mov_b32_e32 v4, s8
	;; [unrolled: 1-line block ×13, first 2 shown]
.LBB27_5:
	s_or_b64 exec, exec, s[6:7]
	v_or_b32_e32 v2, 0x100, v0
	v_cmp_gt_u32_e32 vcc, s28, v2
	s_and_saveexec_b64 s[4:5], vcc
	s_cbranch_execz .LBB27_7
; %bb.6:
	global_load_dword v3, v[18:19], off offset:1024
.LBB27_7:
	s_or_b64 exec, exec, s[4:5]
	v_or_b32_e32 v2, 0x200, v0
	v_cmp_gt_u32_e32 vcc, s28, v2
	s_and_saveexec_b64 s[4:5], vcc
	s_cbranch_execz .LBB27_9
; %bb.8:
	global_load_dword v4, v[18:19], off offset:2048
.LBB27_9:
	;; [unrolled: 8-line block ×3, first 2 shown]
	s_or_b64 exec, exec, s[4:5]
	v_or_b32_e32 v2, 0x400, v0
	v_cmp_gt_u32_e32 vcc, s28, v2
	s_and_saveexec_b64 s[4:5], vcc
	s_cbranch_execz .LBB27_13
; %bb.12:
	v_add_co_u32_e32 v16, vcc, 0x1000, v18
	s_nop 1
	v_addc_co_u32_e32 v17, vcc, 0, v19, vcc
	global_load_dword v6, v[16:17], off
.LBB27_13:
	s_or_b64 exec, exec, s[4:5]
	v_or_b32_e32 v2, 0x500, v0
	v_cmp_gt_u32_e32 vcc, s28, v2
	s_and_saveexec_b64 s[4:5], vcc
	s_cbranch_execz .LBB27_15
; %bb.14:
	v_add_co_u32_e32 v16, vcc, 0x1000, v18
	s_nop 1
	v_addc_co_u32_e32 v17, vcc, 0, v19, vcc
	global_load_dword v7, v[16:17], off offset:1024
.LBB27_15:
	s_or_b64 exec, exec, s[4:5]
	v_or_b32_e32 v2, 0x600, v0
	v_cmp_gt_u32_e32 vcc, s28, v2
	s_and_saveexec_b64 s[4:5], vcc
	s_cbranch_execz .LBB27_17
; %bb.16:
	v_add_co_u32_e32 v16, vcc, 0x1000, v18
	s_nop 1
	v_addc_co_u32_e32 v17, vcc, 0, v19, vcc
	global_load_dword v8, v[16:17], off offset:2048
.LBB27_17:
	;; [unrolled: 11-line block ×3, first 2 shown]
	s_or_b64 exec, exec, s[4:5]
	v_or_b32_e32 v2, 0x800, v0
	v_cmp_gt_u32_e32 vcc, s28, v2
	s_and_saveexec_b64 s[4:5], vcc
	s_cbranch_execz .LBB27_21
; %bb.20:
	v_add_co_u32_e32 v16, vcc, 0x2000, v18
	s_nop 1
	v_addc_co_u32_e32 v17, vcc, 0, v19, vcc
	global_load_dword v10, v[16:17], off
.LBB27_21:
	s_or_b64 exec, exec, s[4:5]
	v_or_b32_e32 v2, 0x900, v0
	v_cmp_gt_u32_e32 vcc, s28, v2
	s_and_saveexec_b64 s[4:5], vcc
	s_cbranch_execz .LBB27_23
; %bb.22:
	v_add_co_u32_e32 v16, vcc, 0x2000, v18
	s_nop 1
	v_addc_co_u32_e32 v17, vcc, 0, v19, vcc
	global_load_dword v11, v[16:17], off offset:1024
.LBB27_23:
	s_or_b64 exec, exec, s[4:5]
	v_or_b32_e32 v2, 0xa00, v0
	v_cmp_gt_u32_e32 vcc, s28, v2
	s_and_saveexec_b64 s[4:5], vcc
	s_cbranch_execz .LBB27_25
; %bb.24:
	v_add_co_u32_e32 v16, vcc, 0x2000, v18
	s_nop 1
	v_addc_co_u32_e32 v17, vcc, 0, v19, vcc
	global_load_dword v12, v[16:17], off offset:2048
.LBB27_25:
	;; [unrolled: 11-line block ×3, first 2 shown]
	s_or_b64 exec, exec, s[4:5]
	v_or_b32_e32 v2, 0xc00, v0
	v_cmp_gt_u32_e32 vcc, s28, v2
	s_and_saveexec_b64 s[4:5], vcc
	s_cbranch_execz .LBB27_29
; %bb.28:
	v_add_co_u32_e32 v16, vcc, 0x3000, v18
	s_nop 1
	v_addc_co_u32_e32 v17, vcc, 0, v19, vcc
	global_load_dword v14, v[16:17], off
.LBB27_29:
	s_or_b64 exec, exec, s[4:5]
	v_or_b32_e32 v2, 0xd00, v0
	v_cmp_gt_u32_e32 vcc, s28, v2
	s_and_saveexec_b64 s[4:5], vcc
	s_cbranch_execz .LBB27_31
; %bb.30:
	v_add_co_u32_e32 v16, vcc, 0x3000, v18
	s_nop 1
	v_addc_co_u32_e32 v17, vcc, 0, v19, vcc
	global_load_dword v15, v[16:17], off offset:1024
.LBB27_31:
	s_or_b64 exec, exec, s[4:5]
	s_waitcnt vmcnt(0)
	ds_write2st64_b32 v30, v1, v3 offset1:4
	ds_write2st64_b32 v30, v4, v5 offset0:8 offset1:12
	ds_write2st64_b32 v30, v6, v7 offset0:16 offset1:20
	;; [unrolled: 1-line block ×6, first 2 shown]
	s_waitcnt lgkmcnt(0)
	s_barrier
.LBB27_32:
	v_mul_u32_u24_e32 v1, 56, v0
	ds_read2_b64 v[26:29], v1 offset1:1
	ds_read2_b64 v[22:25], v1 offset0:2 offset1:3
	ds_read2_b64 v[18:21], v1 offset0:4 offset1:5
	ds_read_b64 v[32:33], v1 offset:48
	s_load_dwordx2 s[8:9], s[0:1], 0x20
	s_cmp_lg_u32 s2, 0
	v_mbcnt_lo_u32_b32 v35, -1, 0
	v_lshrrev_b32_e32 v31, 6, v0
	v_or_b32_e32 v34, 63, v0
	s_waitcnt lgkmcnt(0)
	s_barrier
	s_cbranch_scc0 .LBB27_54
; %bb.33:
	v_add_u32_e32 v2, v27, v26
	v_add3_u32 v2, v2, v28, v29
	v_add3_u32 v2, v2, v22, v23
	;; [unrolled: 1-line block ×5, first 2 shown]
	v_mbcnt_hi_u32_b32 v5, -1, v35
	v_add3_u32 v2, v2, v32, v33
	v_and_b32_e32 v3, 15, v5
	v_cmp_ne_u32_e32 vcc, 0, v3
	v_mov_b32_dpp v4, v2 row_shr:1 row_mask:0xf bank_mask:0xf
	s_nop 0
	v_cndmask_b32_e32 v4, 0, v4, vcc
	v_add_u32_e32 v2, v4, v2
	v_cmp_lt_u32_e32 vcc, 1, v3
	s_nop 0
	v_mov_b32_dpp v4, v2 row_shr:2 row_mask:0xf bank_mask:0xf
	v_cndmask_b32_e32 v4, 0, v4, vcc
	v_add_u32_e32 v2, v2, v4
	v_cmp_lt_u32_e32 vcc, 3, v3
	s_nop 0
	v_mov_b32_dpp v4, v2 row_shr:4 row_mask:0xf bank_mask:0xf
	;; [unrolled: 5-line block ×3, first 2 shown]
	v_cndmask_b32_e32 v3, 0, v4, vcc
	v_add_u32_e32 v2, v2, v3
	v_bfe_i32 v4, v5, 4, 1
	v_cmp_lt_u32_e32 vcc, 31, v5
	v_mov_b32_dpp v3, v2 row_bcast:15 row_mask:0xf bank_mask:0xf
	v_and_b32_e32 v3, v4, v3
	v_add_u32_e32 v2, v2, v3
	s_nop 1
	v_mov_b32_dpp v3, v2 row_bcast:31 row_mask:0xf bank_mask:0xf
	v_cndmask_b32_e32 v3, 0, v3, vcc
	v_add_u32_e32 v2, v2, v3
	v_cmp_eq_u32_e32 vcc, v0, v34
	s_and_saveexec_b64 s[4:5], vcc
; %bb.34:
	v_lshlrev_b32_e32 v3, 2, v31
	ds_write_b32 v3, v2
; %bb.35:
	s_or_b64 exec, exec, s[4:5]
	v_cmp_gt_u32_e32 vcc, 4, v0
	s_waitcnt lgkmcnt(0)
	s_barrier
	s_and_saveexec_b64 s[4:5], vcc
	s_cbranch_execz .LBB27_37
; %bb.36:
	ds_read_b32 v3, v30
	v_and_b32_e32 v4, 3, v5
	v_cmp_ne_u32_e32 vcc, 0, v4
	s_waitcnt lgkmcnt(0)
	v_mov_b32_dpp v6, v3 row_shr:1 row_mask:0xf bank_mask:0xf
	v_cndmask_b32_e32 v6, 0, v6, vcc
	v_add_u32_e32 v3, v6, v3
	v_cmp_lt_u32_e32 vcc, 1, v4
	s_nop 0
	v_mov_b32_dpp v6, v3 row_shr:2 row_mask:0xf bank_mask:0xf
	v_cndmask_b32_e32 v4, 0, v6, vcc
	v_add_u32_e32 v3, v3, v4
	ds_write_b32 v30, v3
.LBB27_37:
	s_or_b64 exec, exec, s[4:5]
	v_cmp_gt_u32_e32 vcc, 64, v0
	v_cmp_lt_u32_e64 s[4:5], 63, v0
	s_waitcnt lgkmcnt(0)
	s_barrier
                                        ; implicit-def: $vgpr12
	s_and_saveexec_b64 s[6:7], s[4:5]
	s_cbranch_execz .LBB27_39
; %bb.38:
	v_lshl_add_u32 v3, v31, 2, -4
	ds_read_b32 v12, v3
	s_waitcnt lgkmcnt(0)
	v_add_u32_e32 v2, v12, v2
.LBB27_39:
	s_or_b64 exec, exec, s[6:7]
	v_subrev_co_u32_e64 v3, s[4:5], 1, v5
	v_and_b32_e32 v4, 64, v5
	v_cmp_lt_i32_e64 s[6:7], v3, v4
	s_nop 1
	v_cndmask_b32_e64 v3, v3, v5, s[6:7]
	v_lshlrev_b32_e32 v3, 2, v3
	ds_bpermute_b32 v13, v3, v2
	s_and_saveexec_b64 s[6:7], vcc
	s_cbranch_execz .LBB27_59
; %bb.40:
	v_mov_b32_e32 v9, 0
	ds_read_b32 v2, v9 offset:12
	s_and_saveexec_b64 s[10:11], s[4:5]
	s_cbranch_execz .LBB27_42
; %bb.41:
	s_add_i32 s12, s2, 64
	s_mov_b32 s13, 0
	s_lshl_b64 s[12:13], s[12:13], 3
	s_add_u32 s12, s8, s12
	v_mov_b32_e32 v3, 1
	s_addc_u32 s13, s9, s13
	s_waitcnt lgkmcnt(0)
	global_store_dwordx2 v9, v[2:3], s[12:13] sc1
.LBB27_42:
	s_or_b64 exec, exec, s[10:11]
	v_xad_u32 v4, v5, -1, s2
	v_add_u32_e32 v8, 64, v4
	v_lshl_add_u64 v[10:11], v[8:9], 3, s[8:9]
	global_load_dwordx2 v[6:7], v[10:11], off sc1
	s_waitcnt vmcnt(0)
	v_cmp_eq_u16_sdwa s[12:13], v7, v9 src0_sel:BYTE_0 src1_sel:DWORD
	s_and_saveexec_b64 s[10:11], s[12:13]
	s_cbranch_execz .LBB27_46
; %bb.43:
	s_mov_b64 s[12:13], 0
	v_mov_b32_e32 v3, 0
.LBB27_44:                              ; =>This Inner Loop Header: Depth=1
	global_load_dwordx2 v[6:7], v[10:11], off sc1
	s_waitcnt vmcnt(0)
	v_cmp_ne_u16_sdwa s[14:15], v7, v3 src0_sel:BYTE_0 src1_sel:DWORD
	s_or_b64 s[12:13], s[14:15], s[12:13]
	s_andn2_b64 exec, exec, s[12:13]
	s_cbranch_execnz .LBB27_44
; %bb.45:
	s_or_b64 exec, exec, s[12:13]
.LBB27_46:
	s_or_b64 exec, exec, s[10:11]
	v_and_b32_e32 v38, 63, v5
	v_mov_b32_e32 v3, 2
	v_cmp_ne_u32_e32 vcc, 63, v38
	v_cmp_eq_u16_sdwa s[10:11], v7, v3 src0_sel:BYTE_0 src1_sel:DWORD
	v_lshlrev_b64 v[8:9], v5, -1
	v_addc_co_u32_e32 v14, vcc, 0, v5, vcc
	v_and_b32_e32 v10, s11, v9
	v_lshlrev_b32_e32 v14, 2, v14
	v_or_b32_e32 v10, 0x80000000, v10
	ds_bpermute_b32 v16, v14, v6
	v_and_b32_e32 v11, s10, v8
	v_ffbl_b32_e32 v10, v10
	v_add_u32_e32 v10, 32, v10
	v_ffbl_b32_e32 v11, v11
	v_min_u32_e32 v10, v11, v10
	v_add_u32_e32 v15, 1, v5
	v_cmp_le_u32_e32 vcc, v15, v10
	v_add_u32_e32 v17, 2, v5
	v_add_u32_e32 v37, 4, v5
	s_waitcnt lgkmcnt(0)
	v_cndmask_b32_e32 v11, 0, v16, vcc
	v_cmp_gt_u32_e32 vcc, 62, v38
	v_add_u32_e32 v6, v11, v6
	v_add_u32_e32 v40, 8, v5
	v_cndmask_b32_e64 v11, 0, 2, vcc
	v_add_lshl_u32 v16, v11, v5, 2
	ds_bpermute_b32 v11, v16, v6
	v_cmp_le_u32_e32 vcc, v17, v10
	v_add_u32_e32 v42, 16, v5
	v_add_u32_e32 v44, 32, v5
	s_waitcnt lgkmcnt(0)
	v_cndmask_b32_e32 v11, 0, v11, vcc
	v_cmp_gt_u32_e32 vcc, 60, v38
	v_add_u32_e32 v6, v6, v11
	s_nop 0
	v_cndmask_b32_e64 v11, 0, 4, vcc
	v_add_lshl_u32 v36, v11, v5, 2
	ds_bpermute_b32 v11, v36, v6
	v_cmp_le_u32_e32 vcc, v37, v10
	s_waitcnt lgkmcnt(0)
	s_nop 0
	v_cndmask_b32_e32 v11, 0, v11, vcc
	v_cmp_gt_u32_e32 vcc, 56, v38
	v_add_u32_e32 v6, v6, v11
	s_nop 0
	v_cndmask_b32_e64 v11, 0, 8, vcc
	v_add_lshl_u32 v39, v11, v5, 2
	ds_bpermute_b32 v11, v39, v6
	v_cmp_le_u32_e32 vcc, v40, v10
	s_waitcnt lgkmcnt(0)
	s_nop 0
	;; [unrolled: 10-line block ×3, first 2 shown]
	v_cndmask_b32_e32 v11, 0, v11, vcc
	v_add_u32_e32 v6, v6, v11
	v_mov_b32_e32 v11, 0x80
	v_lshl_or_b32 v43, v5, 2, v11
	ds_bpermute_b32 v11, v43, v6
	v_cmp_le_u32_e32 vcc, v44, v10
	s_waitcnt lgkmcnt(0)
	s_nop 0
	v_cndmask_b32_e32 v5, 0, v11, vcc
	v_add_u32_e32 v6, v6, v5
	v_mov_b32_e32 v5, 0
	s_branch .LBB27_50
.LBB27_47:                              ;   in Loop: Header=BB27_50 Depth=1
	s_or_b64 exec, exec, s[12:13]
.LBB27_48:                              ;   in Loop: Header=BB27_50 Depth=1
	s_or_b64 exec, exec, s[10:11]
	v_cmp_eq_u16_sdwa s[10:11], v7, v3 src0_sel:BYTE_0 src1_sel:DWORD
	ds_bpermute_b32 v45, v14, v6
	v_subrev_u32_e32 v4, 64, v4
	v_and_b32_e32 v10, s11, v9
	v_or_b32_e32 v10, 0x80000000, v10
	v_and_b32_e32 v11, s10, v8
	v_ffbl_b32_e32 v10, v10
	v_add_u32_e32 v10, 32, v10
	v_ffbl_b32_e32 v11, v11
	v_min_u32_e32 v10, v11, v10
	v_cmp_le_u32_e32 vcc, v15, v10
	s_mov_b64 s[10:11], 0
	s_waitcnt lgkmcnt(0)
	v_cndmask_b32_e32 v11, 0, v45, vcc
	v_add_u32_e32 v6, v11, v6
	ds_bpermute_b32 v11, v16, v6
	v_cmp_le_u32_e32 vcc, v17, v10
	s_waitcnt lgkmcnt(0)
	s_nop 0
	v_cndmask_b32_e32 v11, 0, v11, vcc
	v_add_u32_e32 v6, v6, v11
	ds_bpermute_b32 v11, v36, v6
	v_cmp_le_u32_e32 vcc, v37, v10
	s_waitcnt lgkmcnt(0)
	s_nop 0
	;; [unrolled: 6-line block ×5, first 2 shown]
	v_cndmask_b32_e32 v10, 0, v11, vcc
	v_add3_u32 v6, v10, v38, v6
.LBB27_49:                              ;   in Loop: Header=BB27_50 Depth=1
	s_and_b64 vcc, exec, s[10:11]
	s_cbranch_vccnz .LBB27_55
.LBB27_50:                              ; =>This Loop Header: Depth=1
                                        ;     Child Loop BB27_53 Depth 2
	v_cmp_ne_u16_sdwa s[10:11], v7, v3 src0_sel:BYTE_0 src1_sel:DWORD
	v_mov_b32_e32 v38, v6
	s_cmp_lg_u64 s[10:11], exec
	s_mov_b64 s[10:11], -1
                                        ; implicit-def: $vgpr6
                                        ; implicit-def: $vgpr7
	s_cbranch_scc1 .LBB27_49
; %bb.51:                               ;   in Loop: Header=BB27_50 Depth=1
	v_lshl_add_u64 v[10:11], v[4:5], 3, s[8:9]
	global_load_dwordx2 v[6:7], v[10:11], off sc1
	s_waitcnt vmcnt(0)
	v_cmp_eq_u16_sdwa s[12:13], v7, v5 src0_sel:BYTE_0 src1_sel:DWORD
	s_and_saveexec_b64 s[10:11], s[12:13]
	s_cbranch_execz .LBB27_48
; %bb.52:                               ;   in Loop: Header=BB27_50 Depth=1
	s_mov_b64 s[12:13], 0
.LBB27_53:                              ;   Parent Loop BB27_50 Depth=1
                                        ; =>  This Inner Loop Header: Depth=2
	global_load_dwordx2 v[6:7], v[10:11], off sc1
	s_waitcnt vmcnt(0)
	v_cmp_ne_u16_sdwa s[14:15], v7, v5 src0_sel:BYTE_0 src1_sel:DWORD
	s_or_b64 s[12:13], s[14:15], s[12:13]
	s_andn2_b64 exec, exec, s[12:13]
	s_cbranch_execnz .LBB27_53
	s_branch .LBB27_47
.LBB27_54:
                                        ; implicit-def: $vgpr2_vgpr3_vgpr4_vgpr5_vgpr6_vgpr7_vgpr8_vgpr9_vgpr10_vgpr11_vgpr12_vgpr13_vgpr14_vgpr15_vgpr16_vgpr17
	s_load_dwordx4 s[4:7], s[0:1], 0x30
	s_cbranch_execnz .LBB27_60
	s_branch .LBB27_71
.LBB27_55:
	s_and_saveexec_b64 s[10:11], s[4:5]
	s_cbranch_execz .LBB27_57
; %bb.56:
	s_add_i32 s2, s2, 64
	s_mov_b32 s3, 0
	s_lshl_b64 s[2:3], s[2:3], 3
	s_add_u32 s2, s8, s2
	v_add_u32_e32 v2, v38, v2
	v_mov_b32_e32 v3, 2
	s_addc_u32 s3, s9, s3
	v_mov_b32_e32 v4, 0
	global_store_dwordx2 v4, v[2:3], s[2:3] sc1
.LBB27_57:
	s_or_b64 exec, exec, s[10:11]
	v_cmp_eq_u32_e32 vcc, 0, v0
	s_and_b64 exec, exec, vcc
; %bb.58:
	v_mov_b32_e32 v2, 0
	ds_write_b32 v2, v38 offset:12
.LBB27_59:
	s_or_b64 exec, exec, s[6:7]
	v_mov_b32_e32 v2, 0
	s_waitcnt lgkmcnt(0)
	s_barrier
	ds_read_b32 v2, v2 offset:12
	v_cndmask_b32_e64 v3, v13, v12, s[4:5]
	v_cmp_ne_u32_e32 vcc, 0, v0
	s_nop 1
	v_cndmask_b32_e32 v3, 0, v3, vcc
	s_waitcnt lgkmcnt(0)
	v_add3_u32 v2, v3, v26, v2
	v_add_u32_e32 v3, v2, v27
	v_add_u32_e32 v4, v3, v28
	;; [unrolled: 1-line block ×13, first 2 shown]
	s_load_dwordx4 s[4:7], s[0:1], 0x30
	s_branch .LBB27_71
.LBB27_60:
	s_load_dword s2, s[0:1], 0x40
	v_cmp_eq_u32_e32 vcc, 0, v0
	s_waitcnt lgkmcnt(0)
	s_bitcmp1_b32 s2, 0
	s_cselect_b64 s[2:3], -1, 0
	s_and_b64 s[10:11], vcc, s[2:3]
	s_and_saveexec_b64 s[2:3], s[10:11]
	s_cbranch_execz .LBB27_62
; %bb.61:
	v_mov_b32_e32 v2, 0
	global_load_dword v2, v2, s[4:5]
	s_waitcnt vmcnt(0)
	v_add_u32_e32 v26, v2, v26
.LBB27_62:
	s_or_b64 exec, exec, s[2:3]
	v_add_u32_e32 v2, v27, v26
	v_add3_u32 v2, v2, v28, v29
	v_add3_u32 v2, v2, v22, v23
	;; [unrolled: 1-line block ×6, first 2 shown]
	v_mbcnt_hi_u32_b32 v2, -1, v35
	v_and_b32_e32 v4, 15, v2
	v_mov_b32_dpp v5, v3 row_shr:1 row_mask:0xf bank_mask:0xf
	v_cmp_ne_u32_e64 s[2:3], 0, v4
	s_nop 1
	v_cndmask_b32_e64 v5, 0, v5, s[2:3]
	v_add_u32_e32 v3, v3, v5
	v_cmp_lt_u32_e64 s[2:3], 1, v4
	s_nop 0
	v_mov_b32_dpp v5, v3 row_shr:2 row_mask:0xf bank_mask:0xf
	v_cndmask_b32_e64 v5, 0, v5, s[2:3]
	v_add_u32_e32 v3, v3, v5
	v_cmp_lt_u32_e64 s[2:3], 3, v4
	s_nop 0
	v_mov_b32_dpp v5, v3 row_shr:4 row_mask:0xf bank_mask:0xf
	;; [unrolled: 5-line block ×3, first 2 shown]
	v_cndmask_b32_e64 v4, 0, v5, s[2:3]
	v_add_u32_e32 v3, v3, v4
	v_bfe_i32 v5, v2, 4, 1
	v_cmp_lt_u32_e64 s[2:3], 31, v2
	v_mov_b32_dpp v4, v3 row_bcast:15 row_mask:0xf bank_mask:0xf
	v_and_b32_e32 v4, v5, v4
	v_add_u32_e32 v3, v3, v4
	s_nop 1
	v_mov_b32_dpp v4, v3 row_bcast:31 row_mask:0xf bank_mask:0xf
	v_cndmask_b32_e64 v4, 0, v4, s[2:3]
	v_add_u32_e32 v3, v3, v4
	v_cmp_eq_u32_e64 s[2:3], v0, v34
	s_and_saveexec_b64 s[4:5], s[2:3]
; %bb.63:
	v_lshlrev_b32_e32 v4, 2, v31
	ds_write_b32 v4, v3
; %bb.64:
	s_or_b64 exec, exec, s[4:5]
	v_cmp_gt_u32_e64 s[2:3], 4, v0
	s_waitcnt lgkmcnt(0)
	s_barrier
	s_and_saveexec_b64 s[4:5], s[2:3]
	s_cbranch_execz .LBB27_66
; %bb.65:
	s_movk_i32 s2, 0xffcc
	v_mad_i32_i24 v4, v0, s2, v1
	ds_read_b32 v5, v4
	v_and_b32_e32 v6, 3, v2
	v_cmp_ne_u32_e64 s[2:3], 0, v6
	s_waitcnt lgkmcnt(0)
	v_mov_b32_dpp v7, v5 row_shr:1 row_mask:0xf bank_mask:0xf
	v_cndmask_b32_e64 v7, 0, v7, s[2:3]
	v_add_u32_e32 v5, v7, v5
	v_cmp_lt_u32_e64 s[2:3], 1, v6
	s_nop 0
	v_mov_b32_dpp v7, v5 row_shr:2 row_mask:0xf bank_mask:0xf
	v_cndmask_b32_e64 v6, 0, v7, s[2:3]
	v_add_u32_e32 v5, v5, v6
	ds_write_b32 v4, v5
.LBB27_66:
	s_or_b64 exec, exec, s[4:5]
	v_cmp_lt_u32_e64 s[2:3], 63, v0
	s_waitcnt lgkmcnt(0)
	s_barrier
                                        ; implicit-def: $vgpr4
	s_and_saveexec_b64 s[4:5], s[2:3]
	s_cbranch_execz .LBB27_68
; %bb.67:
	v_lshl_add_u32 v4, v31, 2, -4
	ds_read_b32 v4, v4
	s_waitcnt lgkmcnt(0)
	v_add_u32_e32 v3, v4, v3
.LBB27_68:
	s_or_b64 exec, exec, s[4:5]
	v_subrev_co_u32_e64 v5, s[2:3], 1, v2
	v_and_b32_e32 v6, 64, v2
	v_cmp_lt_i32_e64 s[4:5], v5, v6
	s_nop 1
	v_cndmask_b32_e64 v2, v5, v2, s[4:5]
	v_lshlrev_b32_e32 v2, 2, v2
	ds_bpermute_b32 v2, v2, v3
	s_waitcnt lgkmcnt(0)
	v_cndmask_b32_e64 v2, v2, v4, s[2:3]
	v_cndmask_b32_e64 v2, v2, 0, vcc
	v_add_u32_e32 v2, v2, v26
	v_add_u32_e32 v3, v2, v27
	;; [unrolled: 1-line block ×14, first 2 shown]
	s_and_saveexec_b64 s[2:3], vcc
	s_cbranch_execz .LBB27_70
; %bb.69:
	v_mov_b32_e32 v16, 0
	ds_read_b32 v18, v16 offset:12
	v_mov_b32_e32 v19, 2
	s_waitcnt lgkmcnt(0)
	global_store_dwordx2 v16, v[18:19], s[8:9] offset:512 sc1
.LBB27_70:
	s_or_b64 exec, exec, s[2:3]
.LBB27_71:
	s_add_u32 s2, s22, s26
	s_addc_u32 s3, s23, s27
	s_waitcnt lgkmcnt(0)
	s_mov_b64 s[4:5], -1
	s_and_b64 vcc, exec, s[24:25]
	s_barrier
	s_cbranch_vccz .LBB27_73
; %bb.72:
	v_mov_b32_e32 v31, 0
	ds_write2_b64 v1, v[2:3], v[4:5] offset1:1
	ds_write2_b64 v1, v[6:7], v[8:9] offset0:2 offset1:3
	ds_write2_b64 v1, v[10:11], v[12:13] offset0:4 offset1:5
	ds_write_b64 v1, v[14:15] offset:48
	s_waitcnt lgkmcnt(0)
	s_barrier
	ds_read2st64_b32 v[16:17], v30 offset1:4
	ds_read2st64_b32 v[18:19], v30 offset0:8 offset1:12
	ds_read2st64_b32 v[20:21], v30 offset0:16 offset1:20
	;; [unrolled: 1-line block ×6, first 2 shown]
	v_lshl_add_u64 v[32:33], s[2:3], 0, v[30:31]
	s_movk_i32 s4, 0x1000
	s_waitcnt lgkmcnt(6)
	global_store_dword v30, v16, s[2:3]
	global_store_dword v30, v17, s[2:3] offset:1024
	s_waitcnt lgkmcnt(5)
	global_store_dword v30, v18, s[2:3] offset:2048
	global_store_dword v30, v19, s[2:3] offset:3072
	v_add_co_u32_e32 v16, vcc, s4, v32
	s_movk_i32 s4, 0x2000
	s_nop 0
	v_addc_co_u32_e32 v17, vcc, 0, v33, vcc
	v_add_co_u32_e32 v18, vcc, s4, v32
	s_mov_b64 s[4:5], 0
	s_nop 0
	v_addc_co_u32_e32 v19, vcc, 0, v33, vcc
	s_waitcnt lgkmcnt(4)
	global_store_dword v[18:19], v20, off offset:-4096
	global_store_dword v[16:17], v21, off offset:1024
	s_waitcnt lgkmcnt(3)
	global_store_dword v[16:17], v22, off offset:2048
	global_store_dword v[16:17], v23, off offset:3072
	s_waitcnt lgkmcnt(2)
	global_store_dword v[18:19], v24, off
	global_store_dword v[18:19], v25, off offset:1024
	s_waitcnt lgkmcnt(1)
	global_store_dword v[18:19], v26, off offset:2048
	global_store_dword v[18:19], v27, off offset:3072
	v_add_co_u32_e32 v16, vcc, 0x3000, v32
	s_nop 1
	v_addc_co_u32_e32 v17, vcc, 0, v33, vcc
	s_waitcnt lgkmcnt(0)
	global_store_dword v[16:17], v28, off
	global_store_dword v[16:17], v29, off offset:1024
.LBB27_73:
	s_andn2_b64 vcc, exec, s[4:5]
	s_cbranch_vccnz .LBB27_153
; %bb.74:
	ds_write2_b64 v1, v[2:3], v[4:5] offset1:1
	ds_write2_b64 v1, v[6:7], v[8:9] offset0:2 offset1:3
	ds_write2_b64 v1, v[10:11], v[12:13] offset0:4 offset1:5
	ds_write_b64 v1, v[14:15] offset:48
	s_waitcnt lgkmcnt(0)
	s_barrier
	ds_read2st64_b32 v[6:7], v30 offset1:4
	ds_read2st64_b32 v[8:9], v30 offset0:8 offset1:12
	ds_read2st64_b32 v[10:11], v30 offset0:16 offset1:20
	;; [unrolled: 1-line block ×6, first 2 shown]
	v_mov_b32_e32 v31, 0
	v_lshl_add_u64 v[2:3], s[2:3], 0, v[30:31]
	v_cmp_gt_u32_e32 vcc, s28, v0
	s_and_saveexec_b64 s[2:3], vcc
	s_cbranch_execz .LBB27_76
; %bb.75:
	s_waitcnt lgkmcnt(6)
	global_store_dword v[2:3], v6, off
.LBB27_76:
	s_or_b64 exec, exec, s[2:3]
	v_or_b32_e32 v1, 0x100, v0
	v_cmp_gt_u32_e32 vcc, s28, v1
	s_and_saveexec_b64 s[2:3], vcc
	s_cbranch_execz .LBB27_78
; %bb.77:
	s_waitcnt lgkmcnt(6)
	global_store_dword v[2:3], v7, off offset:1024
.LBB27_78:
	s_or_b64 exec, exec, s[2:3]
	v_or_b32_e32 v1, 0x200, v0
	v_cmp_gt_u32_e32 vcc, s28, v1
	s_and_saveexec_b64 s[2:3], vcc
	s_cbranch_execz .LBB27_80
; %bb.79:
	s_waitcnt lgkmcnt(5)
	global_store_dword v[2:3], v8, off offset:2048
.LBB27_80:
	;; [unrolled: 9-line block ×3, first 2 shown]
	s_or_b64 exec, exec, s[2:3]
	v_or_b32_e32 v1, 0x400, v0
	v_cmp_gt_u32_e32 vcc, s28, v1
	s_and_saveexec_b64 s[2:3], vcc
	s_cbranch_execz .LBB27_84
; %bb.83:
	v_add_co_u32_e32 v18, vcc, 0x1000, v2
	s_nop 1
	v_addc_co_u32_e32 v19, vcc, 0, v3, vcc
	s_waitcnt lgkmcnt(4)
	global_store_dword v[18:19], v10, off
.LBB27_84:
	s_or_b64 exec, exec, s[2:3]
	v_or_b32_e32 v1, 0x500, v0
	v_cmp_gt_u32_e32 vcc, s28, v1
	s_and_saveexec_b64 s[2:3], vcc
	s_cbranch_execz .LBB27_86
; %bb.85:
	v_add_co_u32_e32 v18, vcc, 0x1000, v2
	s_nop 1
	v_addc_co_u32_e32 v19, vcc, 0, v3, vcc
	s_waitcnt lgkmcnt(4)
	global_store_dword v[18:19], v11, off offset:1024
.LBB27_86:
	s_or_b64 exec, exec, s[2:3]
	v_or_b32_e32 v1, 0x600, v0
	v_cmp_gt_u32_e32 vcc, s28, v1
	s_and_saveexec_b64 s[2:3], vcc
	s_cbranch_execz .LBB27_88
; %bb.87:
	v_add_co_u32_e32 v18, vcc, 0x1000, v2
	s_nop 1
	v_addc_co_u32_e32 v19, vcc, 0, v3, vcc
	s_waitcnt lgkmcnt(3)
	global_store_dword v[18:19], v4, off offset:2048
.LBB27_88:
	;; [unrolled: 12-line block ×3, first 2 shown]
	s_or_b64 exec, exec, s[2:3]
	v_or_b32_e32 v1, 0x800, v0
	v_cmp_gt_u32_e32 vcc, s28, v1
	s_and_saveexec_b64 s[2:3], vcc
	s_cbranch_execz .LBB27_92
; %bb.91:
	v_add_co_u32_e32 v18, vcc, 0x2000, v2
	s_nop 1
	v_addc_co_u32_e32 v19, vcc, 0, v3, vcc
	s_waitcnt lgkmcnt(2)
	global_store_dword v[18:19], v14, off
.LBB27_92:
	s_or_b64 exec, exec, s[2:3]
	v_or_b32_e32 v1, 0x900, v0
	v_cmp_gt_u32_e32 vcc, s28, v1
	s_and_saveexec_b64 s[2:3], vcc
	s_cbranch_execz .LBB27_94
; %bb.93:
	v_add_co_u32_e32 v18, vcc, 0x2000, v2
	s_nop 1
	v_addc_co_u32_e32 v19, vcc, 0, v3, vcc
	s_waitcnt lgkmcnt(2)
	global_store_dword v[18:19], v15, off offset:1024
.LBB27_94:
	s_or_b64 exec, exec, s[2:3]
	v_or_b32_e32 v1, 0xa00, v0
	v_cmp_gt_u32_e32 vcc, s28, v1
	s_and_saveexec_b64 s[2:3], vcc
	s_cbranch_execz .LBB27_96
; %bb.95:
	v_add_co_u32_e32 v18, vcc, 0x2000, v2
	s_nop 1
	v_addc_co_u32_e32 v19, vcc, 0, v3, vcc
	s_waitcnt lgkmcnt(1)
	global_store_dword v[18:19], v12, off offset:2048
.LBB27_96:
	;; [unrolled: 12-line block ×3, first 2 shown]
	s_or_b64 exec, exec, s[2:3]
	v_or_b32_e32 v1, 0xc00, v0
	v_cmp_gt_u32_e32 vcc, s28, v1
	s_and_saveexec_b64 s[2:3], vcc
	s_cbranch_execz .LBB27_100
; %bb.99:
	v_add_co_u32_e32 v18, vcc, 0x3000, v2
	s_nop 1
	v_addc_co_u32_e32 v19, vcc, 0, v3, vcc
	s_waitcnt lgkmcnt(0)
	global_store_dword v[18:19], v16, off
.LBB27_100:
	s_or_b64 exec, exec, s[2:3]
	v_or_b32_e32 v1, 0xd00, v0
	v_cmp_gt_u32_e32 vcc, s28, v1
	s_and_saveexec_b64 s[2:3], vcc
	s_cbranch_execz .LBB27_102
; %bb.101:
	v_add_co_u32_e32 v2, vcc, 0x3000, v2
	s_nop 1
	v_addc_co_u32_e32 v3, vcc, 0, v3, vcc
	s_waitcnt lgkmcnt(0)
	global_store_dword v[2:3], v17, off offset:1024
.LBB27_102:
	s_or_b64 exec, exec, s[2:3]
	s_load_dword s0, s[0:1], 0x40
	s_waitcnt lgkmcnt(0)
	s_bfe_u32 s0, s0, 0x10008
	s_cmp_eq_u32 s0, 0
	s_cbranch_scc1 .LBB27_153
; %bb.103:
	s_add_u32 s0, s28, -1
	s_addc_u32 s1, s29, -1
	s_lshr_b64 s[2:3], s[0:1], 1
	s_lshr_b32 s5, s1, 1
	s_mul_hi_u32 s3, s2, 0x49249249
	s_mul_i32 s4, s2, 0x49249249
	s_mul_i32 s9, s5, 0x24924925
	s_mul_hi_u32 s2, s2, 0x24924925
	s_mul_hi_u32 s8, s5, 0x24924925
	s_add_u32 s2, s9, s2
	s_addc_u32 s8, s8, 0
	s_add_u32 s2, s4, s2
	s_addc_u32 s2, s3, 0
	;; [unrolled: 2-line block ×3, first 2 shown]
	s_mul_hi_u32 s4, s5, 0x49249249
	s_mul_i32 s5, s5, 0x49249249
	s_add_u32 s2, s5, s2
	s_addc_u32 s3, s4, s3
	v_mov_b32_e32 v1, v31
	s_lshr_b64 s[2:3], s[2:3], 1
	v_cmp_eq_u64_e32 vcc, s[2:3], v[0:1]
	s_and_saveexec_b64 s[2:3], vcc
	s_cbranch_execz .LBB27_153
; %bb.104:
	v_mul_hi_u32_u24_e32 v1, 14, v0
	v_mul_u32_u24_e32 v0, 14, v0
	v_mov_b32_e32 v2, s1
	v_sub_co_u32_e32 v0, vcc, s0, v0
	s_nop 1
	v_subb_co_u32_e32 v1, vcc, v2, v1, vcc
	v_cmp_lt_i64_e32 vcc, 6, v[0:1]
	s_and_saveexec_b64 s[0:1], vcc
	s_xor_b64 s[0:1], exec, s[0:1]
	s_cbranch_execz .LBB27_130
; %bb.105:
	v_cmp_lt_i64_e32 vcc, 9, v[0:1]
	s_and_saveexec_b64 s[2:3], vcc
	s_xor_b64 s[2:3], exec, s[2:3]
	s_cbranch_execz .LBB27_119
; %bb.106:
	v_cmp_lt_i64_e32 vcc, 11, v[0:1]
	s_and_saveexec_b64 s[4:5], vcc
	s_xor_b64 s[4:5], exec, s[4:5]
	s_cbranch_execz .LBB27_112
; %bb.107:
	v_cmp_lt_i64_e32 vcc, 12, v[0:1]
	s_and_saveexec_b64 s[8:9], vcc
	s_xor_b64 s[8:9], exec, s[8:9]
	s_cbranch_execz .LBB27_109
; %bb.108:
	v_mov_b32_e32 v0, 0
	global_store_dword v0, v17, s[6:7]
                                        ; implicit-def: $vgpr16_vgpr17
.LBB27_109:
	s_andn2_saveexec_b64 s[8:9], s[8:9]
	s_cbranch_execz .LBB27_111
; %bb.110:
	v_mov_b32_e32 v0, 0
	global_store_dword v0, v16, s[6:7]
.LBB27_111:
	s_or_b64 exec, exec, s[8:9]
                                        ; implicit-def: $vgpr12_vgpr13
                                        ; implicit-def: $vgpr0_vgpr1
.LBB27_112:
	s_andn2_saveexec_b64 s[4:5], s[4:5]
	s_cbranch_execz .LBB27_118
; %bb.113:
	v_cmp_lt_i64_e32 vcc, 10, v[0:1]
	s_and_saveexec_b64 s[8:9], vcc
	s_xor_b64 s[8:9], exec, s[8:9]
	s_cbranch_execz .LBB27_115
; %bb.114:
	v_mov_b32_e32 v0, 0
	global_store_dword v0, v13, s[6:7]
                                        ; implicit-def: $vgpr12_vgpr13
.LBB27_115:
	s_andn2_saveexec_b64 s[8:9], s[8:9]
	s_cbranch_execz .LBB27_117
; %bb.116:
	v_mov_b32_e32 v0, 0
	global_store_dword v0, v12, s[6:7]
.LBB27_117:
	s_or_b64 exec, exec, s[8:9]
.LBB27_118:
	s_or_b64 exec, exec, s[4:5]
                                        ; implicit-def: $vgpr4_vgpr5
                                        ; implicit-def: $vgpr0_vgpr1
                                        ; implicit-def: $vgpr14_vgpr15
.LBB27_119:
	s_andn2_saveexec_b64 s[2:3], s[2:3]
	s_cbranch_execz .LBB27_129
; %bb.120:
	v_cmp_lt_i64_e32 vcc, 7, v[0:1]
	s_and_saveexec_b64 s[4:5], vcc
	s_xor_b64 s[4:5], exec, s[4:5]
	s_cbranch_execz .LBB27_126
; %bb.121:
	v_cmp_lt_i64_e32 vcc, 8, v[0:1]
	s_and_saveexec_b64 s[8:9], vcc
	s_xor_b64 s[8:9], exec, s[8:9]
	s_cbranch_execz .LBB27_123
; %bb.122:
	v_mov_b32_e32 v0, 0
	global_store_dword v0, v15, s[6:7]
                                        ; implicit-def: $vgpr14_vgpr15
.LBB27_123:
	s_andn2_saveexec_b64 s[8:9], s[8:9]
	s_cbranch_execz .LBB27_125
; %bb.124:
	v_mov_b32_e32 v0, 0
	global_store_dword v0, v14, s[6:7]
.LBB27_125:
	s_or_b64 exec, exec, s[8:9]
                                        ; implicit-def: $vgpr4_vgpr5
.LBB27_126:
	s_andn2_saveexec_b64 s[4:5], s[4:5]
	s_cbranch_execz .LBB27_128
; %bb.127:
	v_mov_b32_e32 v0, 0
	global_store_dword v0, v5, s[6:7]
.LBB27_128:
	s_or_b64 exec, exec, s[4:5]
.LBB27_129:
	s_or_b64 exec, exec, s[2:3]
                                        ; implicit-def: $vgpr0_vgpr1
                                        ; implicit-def: $vgpr10_vgpr11
                                        ; implicit-def: $vgpr6_vgpr7
                                        ; implicit-def: $vgpr8_vgpr9
                                        ; implicit-def: $vgpr4_vgpr5
.LBB27_130:
	s_andn2_saveexec_b64 s[0:1], s[0:1]
	s_cbranch_execz .LBB27_153
; %bb.131:
	v_cmp_lt_i64_e32 vcc, 3, v[0:1]
	s_and_saveexec_b64 s[0:1], vcc
	s_xor_b64 s[0:1], exec, s[0:1]
	s_cbranch_execz .LBB27_141
; %bb.132:
	v_cmp_lt_i64_e32 vcc, 4, v[0:1]
	s_and_saveexec_b64 s[2:3], vcc
	s_xor_b64 s[2:3], exec, s[2:3]
	;; [unrolled: 5-line block ×3, first 2 shown]
	s_cbranch_execz .LBB27_135
; %bb.134:
	v_mov_b32_e32 v0, 0
	global_store_dword v0, v4, s[6:7]
                                        ; implicit-def: $vgpr10_vgpr11
.LBB27_135:
	s_andn2_saveexec_b64 s[4:5], s[4:5]
	s_cbranch_execz .LBB27_137
; %bb.136:
	v_mov_b32_e32 v0, 0
	global_store_dword v0, v11, s[6:7]
.LBB27_137:
	s_or_b64 exec, exec, s[4:5]
                                        ; implicit-def: $vgpr10_vgpr11
.LBB27_138:
	s_andn2_saveexec_b64 s[2:3], s[2:3]
	s_cbranch_execz .LBB27_140
; %bb.139:
	v_mov_b32_e32 v0, 0
	global_store_dword v0, v10, s[6:7]
.LBB27_140:
	s_or_b64 exec, exec, s[2:3]
                                        ; implicit-def: $vgpr0_vgpr1
                                        ; implicit-def: $vgpr6_vgpr7
                                        ; implicit-def: $vgpr8_vgpr9
.LBB27_141:
	s_andn2_saveexec_b64 s[0:1], s[0:1]
	s_cbranch_execz .LBB27_153
; %bb.142:
	v_cmp_lt_i64_e32 vcc, 1, v[0:1]
	s_and_saveexec_b64 s[0:1], vcc
	s_xor_b64 s[0:1], exec, s[0:1]
	s_cbranch_execz .LBB27_148
; %bb.143:
	v_cmp_lt_i64_e32 vcc, 2, v[0:1]
	s_and_saveexec_b64 s[2:3], vcc
	s_xor_b64 s[2:3], exec, s[2:3]
	s_cbranch_execz .LBB27_145
; %bb.144:
	v_mov_b32_e32 v0, 0
	global_store_dword v0, v9, s[6:7]
                                        ; implicit-def: $vgpr8_vgpr9
.LBB27_145:
	s_andn2_saveexec_b64 s[2:3], s[2:3]
	s_cbranch_execz .LBB27_147
; %bb.146:
	v_mov_b32_e32 v0, 0
	global_store_dword v0, v8, s[6:7]
.LBB27_147:
	s_or_b64 exec, exec, s[2:3]
                                        ; implicit-def: $vgpr6_vgpr7
                                        ; implicit-def: $vgpr0_vgpr1
.LBB27_148:
	s_andn2_saveexec_b64 s[0:1], s[0:1]
	s_cbranch_execz .LBB27_153
; %bb.149:
	v_cmp_ne_u64_e32 vcc, 1, v[0:1]
	s_and_saveexec_b64 s[0:1], vcc
	s_xor_b64 s[0:1], exec, s[0:1]
	s_cbranch_execz .LBB27_151
; %bb.150:
	v_mov_b32_e32 v0, 0
	global_store_dword v0, v6, s[6:7]
                                        ; implicit-def: $vgpr6_vgpr7
.LBB27_151:
	s_andn2_saveexec_b64 s[0:1], s[0:1]
	s_cbranch_execz .LBB27_153
; %bb.152:
	v_mov_b32_e32 v0, 0
	global_store_dword v0, v7, s[6:7]
.LBB27_153:
	s_endpgm
	.section	.rodata,"a",@progbits
	.p2align	6, 0x0
	.amdhsa_kernel _ZN7rocprim17ROCPRIM_304000_NS6detail20lookback_scan_kernelILNS1_25lookback_scan_determinismE0ELb0ENS1_19wrapped_scan_configINS0_14default_configEiEEPKiPiSt4plusIiEiiNS1_19lookback_scan_stateIiLb0ELb1EEEEEvT2_T3_mT5_T4_T7_jPT6_SK_bb
		.amdhsa_group_segment_fixed_size 14336
		.amdhsa_private_segment_fixed_size 0
		.amdhsa_kernarg_size 68
		.amdhsa_user_sgpr_count 2
		.amdhsa_user_sgpr_dispatch_ptr 0
		.amdhsa_user_sgpr_queue_ptr 0
		.amdhsa_user_sgpr_kernarg_segment_ptr 1
		.amdhsa_user_sgpr_dispatch_id 0
		.amdhsa_user_sgpr_kernarg_preload_length 0
		.amdhsa_user_sgpr_kernarg_preload_offset 0
		.amdhsa_user_sgpr_private_segment_size 0
		.amdhsa_uses_dynamic_stack 0
		.amdhsa_enable_private_segment 0
		.amdhsa_system_sgpr_workgroup_id_x 1
		.amdhsa_system_sgpr_workgroup_id_y 0
		.amdhsa_system_sgpr_workgroup_id_z 0
		.amdhsa_system_sgpr_workgroup_info 0
		.amdhsa_system_vgpr_workitem_id 0
		.amdhsa_next_free_vgpr 46
		.amdhsa_next_free_sgpr 30
		.amdhsa_accum_offset 48
		.amdhsa_reserve_vcc 1
		.amdhsa_float_round_mode_32 0
		.amdhsa_float_round_mode_16_64 0
		.amdhsa_float_denorm_mode_32 3
		.amdhsa_float_denorm_mode_16_64 3
		.amdhsa_dx10_clamp 1
		.amdhsa_ieee_mode 1
		.amdhsa_fp16_overflow 0
		.amdhsa_tg_split 0
		.amdhsa_exception_fp_ieee_invalid_op 0
		.amdhsa_exception_fp_denorm_src 0
		.amdhsa_exception_fp_ieee_div_zero 0
		.amdhsa_exception_fp_ieee_overflow 0
		.amdhsa_exception_fp_ieee_underflow 0
		.amdhsa_exception_fp_ieee_inexact 0
		.amdhsa_exception_int_div_zero 0
	.end_amdhsa_kernel
	.section	.text._ZN7rocprim17ROCPRIM_304000_NS6detail20lookback_scan_kernelILNS1_25lookback_scan_determinismE0ELb0ENS1_19wrapped_scan_configINS0_14default_configEiEEPKiPiSt4plusIiEiiNS1_19lookback_scan_stateIiLb0ELb1EEEEEvT2_T3_mT5_T4_T7_jPT6_SK_bb,"axG",@progbits,_ZN7rocprim17ROCPRIM_304000_NS6detail20lookback_scan_kernelILNS1_25lookback_scan_determinismE0ELb0ENS1_19wrapped_scan_configINS0_14default_configEiEEPKiPiSt4plusIiEiiNS1_19lookback_scan_stateIiLb0ELb1EEEEEvT2_T3_mT5_T4_T7_jPT6_SK_bb,comdat
.Lfunc_end27:
	.size	_ZN7rocprim17ROCPRIM_304000_NS6detail20lookback_scan_kernelILNS1_25lookback_scan_determinismE0ELb0ENS1_19wrapped_scan_configINS0_14default_configEiEEPKiPiSt4plusIiEiiNS1_19lookback_scan_stateIiLb0ELb1EEEEEvT2_T3_mT5_T4_T7_jPT6_SK_bb, .Lfunc_end27-_ZN7rocprim17ROCPRIM_304000_NS6detail20lookback_scan_kernelILNS1_25lookback_scan_determinismE0ELb0ENS1_19wrapped_scan_configINS0_14default_configEiEEPKiPiSt4plusIiEiiNS1_19lookback_scan_stateIiLb0ELb1EEEEEvT2_T3_mT5_T4_T7_jPT6_SK_bb
                                        ; -- End function
	.set _ZN7rocprim17ROCPRIM_304000_NS6detail20lookback_scan_kernelILNS1_25lookback_scan_determinismE0ELb0ENS1_19wrapped_scan_configINS0_14default_configEiEEPKiPiSt4plusIiEiiNS1_19lookback_scan_stateIiLb0ELb1EEEEEvT2_T3_mT5_T4_T7_jPT6_SK_bb.num_vgpr, 46
	.set _ZN7rocprim17ROCPRIM_304000_NS6detail20lookback_scan_kernelILNS1_25lookback_scan_determinismE0ELb0ENS1_19wrapped_scan_configINS0_14default_configEiEEPKiPiSt4plusIiEiiNS1_19lookback_scan_stateIiLb0ELb1EEEEEvT2_T3_mT5_T4_T7_jPT6_SK_bb.num_agpr, 0
	.set _ZN7rocprim17ROCPRIM_304000_NS6detail20lookback_scan_kernelILNS1_25lookback_scan_determinismE0ELb0ENS1_19wrapped_scan_configINS0_14default_configEiEEPKiPiSt4plusIiEiiNS1_19lookback_scan_stateIiLb0ELb1EEEEEvT2_T3_mT5_T4_T7_jPT6_SK_bb.numbered_sgpr, 30
	.set _ZN7rocprim17ROCPRIM_304000_NS6detail20lookback_scan_kernelILNS1_25lookback_scan_determinismE0ELb0ENS1_19wrapped_scan_configINS0_14default_configEiEEPKiPiSt4plusIiEiiNS1_19lookback_scan_stateIiLb0ELb1EEEEEvT2_T3_mT5_T4_T7_jPT6_SK_bb.num_named_barrier, 0
	.set _ZN7rocprim17ROCPRIM_304000_NS6detail20lookback_scan_kernelILNS1_25lookback_scan_determinismE0ELb0ENS1_19wrapped_scan_configINS0_14default_configEiEEPKiPiSt4plusIiEiiNS1_19lookback_scan_stateIiLb0ELb1EEEEEvT2_T3_mT5_T4_T7_jPT6_SK_bb.private_seg_size, 0
	.set _ZN7rocprim17ROCPRIM_304000_NS6detail20lookback_scan_kernelILNS1_25lookback_scan_determinismE0ELb0ENS1_19wrapped_scan_configINS0_14default_configEiEEPKiPiSt4plusIiEiiNS1_19lookback_scan_stateIiLb0ELb1EEEEEvT2_T3_mT5_T4_T7_jPT6_SK_bb.uses_vcc, 1
	.set _ZN7rocprim17ROCPRIM_304000_NS6detail20lookback_scan_kernelILNS1_25lookback_scan_determinismE0ELb0ENS1_19wrapped_scan_configINS0_14default_configEiEEPKiPiSt4plusIiEiiNS1_19lookback_scan_stateIiLb0ELb1EEEEEvT2_T3_mT5_T4_T7_jPT6_SK_bb.uses_flat_scratch, 0
	.set _ZN7rocprim17ROCPRIM_304000_NS6detail20lookback_scan_kernelILNS1_25lookback_scan_determinismE0ELb0ENS1_19wrapped_scan_configINS0_14default_configEiEEPKiPiSt4plusIiEiiNS1_19lookback_scan_stateIiLb0ELb1EEEEEvT2_T3_mT5_T4_T7_jPT6_SK_bb.has_dyn_sized_stack, 0
	.set _ZN7rocprim17ROCPRIM_304000_NS6detail20lookback_scan_kernelILNS1_25lookback_scan_determinismE0ELb0ENS1_19wrapped_scan_configINS0_14default_configEiEEPKiPiSt4plusIiEiiNS1_19lookback_scan_stateIiLb0ELb1EEEEEvT2_T3_mT5_T4_T7_jPT6_SK_bb.has_recursion, 0
	.set _ZN7rocprim17ROCPRIM_304000_NS6detail20lookback_scan_kernelILNS1_25lookback_scan_determinismE0ELb0ENS1_19wrapped_scan_configINS0_14default_configEiEEPKiPiSt4plusIiEiiNS1_19lookback_scan_stateIiLb0ELb1EEEEEvT2_T3_mT5_T4_T7_jPT6_SK_bb.has_indirect_call, 0
	.section	.AMDGPU.csdata,"",@progbits
; Kernel info:
; codeLenInByte = 5240
; TotalNumSgprs: 36
; NumVgprs: 46
; NumAgprs: 0
; TotalNumVgprs: 46
; ScratchSize: 0
; MemoryBound: 0
; FloatMode: 240
; IeeeMode: 1
; LDSByteSize: 14336 bytes/workgroup (compile time only)
; SGPRBlocks: 4
; VGPRBlocks: 5
; NumSGPRsForWavesPerEU: 36
; NumVGPRsForWavesPerEU: 46
; AccumOffset: 48
; Occupancy: 8
; WaveLimiterHint : 1
; COMPUTE_PGM_RSRC2:SCRATCH_EN: 0
; COMPUTE_PGM_RSRC2:USER_SGPR: 2
; COMPUTE_PGM_RSRC2:TRAP_HANDLER: 0
; COMPUTE_PGM_RSRC2:TGID_X_EN: 1
; COMPUTE_PGM_RSRC2:TGID_Y_EN: 0
; COMPUTE_PGM_RSRC2:TGID_Z_EN: 0
; COMPUTE_PGM_RSRC2:TIDIG_COMP_CNT: 0
; COMPUTE_PGM_RSRC3_GFX90A:ACCUM_OFFSET: 11
; COMPUTE_PGM_RSRC3_GFX90A:TG_SPLIT: 0
	.section	.text._ZN7rocprim17ROCPRIM_304000_NS6detail16transform_kernelINS1_24wrapped_transform_configINS0_14default_configEiEEiPiS6_NS0_8identityIiEEEEvT1_mT2_T3_,"axG",@progbits,_ZN7rocprim17ROCPRIM_304000_NS6detail16transform_kernelINS1_24wrapped_transform_configINS0_14default_configEiEEiPiS6_NS0_8identityIiEEEEvT1_mT2_T3_,comdat
	.protected	_ZN7rocprim17ROCPRIM_304000_NS6detail16transform_kernelINS1_24wrapped_transform_configINS0_14default_configEiEEiPiS6_NS0_8identityIiEEEEvT1_mT2_T3_ ; -- Begin function _ZN7rocprim17ROCPRIM_304000_NS6detail16transform_kernelINS1_24wrapped_transform_configINS0_14default_configEiEEiPiS6_NS0_8identityIiEEEEvT1_mT2_T3_
	.globl	_ZN7rocprim17ROCPRIM_304000_NS6detail16transform_kernelINS1_24wrapped_transform_configINS0_14default_configEiEEiPiS6_NS0_8identityIiEEEEvT1_mT2_T3_
	.p2align	8
	.type	_ZN7rocprim17ROCPRIM_304000_NS6detail16transform_kernelINS1_24wrapped_transform_configINS0_14default_configEiEEiPiS6_NS0_8identityIiEEEEvT1_mT2_T3_,@function
_ZN7rocprim17ROCPRIM_304000_NS6detail16transform_kernelINS1_24wrapped_transform_configINS0_14default_configEiEEiPiS6_NS0_8identityIiEEEEvT1_mT2_T3_: ; @_ZN7rocprim17ROCPRIM_304000_NS6detail16transform_kernelINS1_24wrapped_transform_configINS0_14default_configEiEEiPiS6_NS0_8identityIiEEEEvT1_mT2_T3_
; %bb.0:
	s_load_dword s3, s[0:1], 0x20
	s_load_dwordx4 s[4:7], s[0:1], 0x0
	s_load_dwordx2 s[8:9], s[0:1], 0x10
	s_lshl_b32 s0, s2, 8
	s_mov_b32 s1, 0
	s_waitcnt lgkmcnt(0)
	s_add_i32 s3, s3, -1
	s_lshl_b64 s[10:11], s[0:1], 2
	s_add_u32 s4, s4, s10
	s_addc_u32 s5, s5, s11
	v_mov_b32_e32 v3, 0
	v_lshlrev_b32_e32 v2, 2, v0
	s_cmp_lg_u32 s2, s3
	v_lshl_add_u64 v[4:5], s[4:5], 0, v[2:3]
	s_cbranch_scc0 .LBB28_2
; %bb.1:
	global_load_dword v3, v[4:5], off
	global_load_dword v1, v[4:5], off offset:512
	s_add_u32 s2, s8, s10
	s_addc_u32 s3, s9, s11
	s_waitcnt vmcnt(1)
	global_store_dword v2, v3, s[2:3]
	s_mov_b64 s[2:3], -1
	s_cbranch_execz .LBB28_3
	s_branch .LBB28_10
.LBB28_2:
	s_mov_b64 s[2:3], 0
                                        ; implicit-def: $vgpr1
.LBB28_3:
	s_sub_i32 s4, s6, s0
	v_mov_b32_e32 v6, 0
	v_cmp_gt_u32_e32 vcc, s4, v0
	v_mov_b32_e32 v7, v6
	s_and_saveexec_b64 s[0:1], vcc
	s_cbranch_execz .LBB28_5
; %bb.4:
	global_load_dword v8, v[4:5], off
	v_mov_b32_e32 v9, v6
	s_waitcnt vmcnt(0)
	v_mov_b64_e32 v[6:7], v[8:9]
.LBB28_5:
	s_or_b64 exec, exec, s[0:1]
	v_or_b32_e32 v0, 0x80, v0
	v_cmp_gt_u32_e64 s[0:1], s4, v0
	s_and_saveexec_b64 s[4:5], s[0:1]
	s_cbranch_execnz .LBB28_13
; %bb.6:
	s_or_b64 exec, exec, s[4:5]
	v_cndmask_b32_e32 v0, 0, v6, vcc
	s_and_saveexec_b64 s[4:5], vcc
	s_cbranch_execnz .LBB28_14
.LBB28_7:
	s_or_b64 exec, exec, s[4:5]
                                        ; implicit-def: $vgpr1
	s_and_saveexec_b64 s[4:5], s[0:1]
	s_cbranch_execz .LBB28_9
.LBB28_8:
	s_waitcnt vmcnt(0)
	v_cndmask_b32_e64 v1, 0, v7, s[0:1]
	s_or_b64 s[2:3], s[2:3], exec
.LBB28_9:
	s_or_b64 exec, exec, s[4:5]
.LBB28_10:
	s_and_saveexec_b64 s[0:1], s[2:3]
	s_cbranch_execnz .LBB28_12
; %bb.11:
	s_endpgm
.LBB28_12:
	s_add_u32 s0, s8, s10
	s_addc_u32 s1, s9, s11
	s_waitcnt vmcnt(1)
	global_store_dword v2, v1, s[0:1] offset:512
	s_endpgm
.LBB28_13:
	global_load_dword v7, v[4:5], off offset:512
	s_or_b64 exec, exec, s[4:5]
	v_cndmask_b32_e32 v0, 0, v6, vcc
	s_and_saveexec_b64 s[4:5], vcc
	s_cbranch_execz .LBB28_7
.LBB28_14:
	s_add_u32 s6, s8, s10
	s_addc_u32 s7, s9, s11
	global_store_dword v2, v0, s[6:7]
	s_or_b64 exec, exec, s[4:5]
                                        ; implicit-def: $vgpr1
	s_and_saveexec_b64 s[4:5], s[0:1]
	s_cbranch_execnz .LBB28_8
	s_branch .LBB28_9
	.section	.rodata,"a",@progbits
	.p2align	6, 0x0
	.amdhsa_kernel _ZN7rocprim17ROCPRIM_304000_NS6detail16transform_kernelINS1_24wrapped_transform_configINS0_14default_configEiEEiPiS6_NS0_8identityIiEEEEvT1_mT2_T3_
		.amdhsa_group_segment_fixed_size 0
		.amdhsa_private_segment_fixed_size 0
		.amdhsa_kernarg_size 288
		.amdhsa_user_sgpr_count 2
		.amdhsa_user_sgpr_dispatch_ptr 0
		.amdhsa_user_sgpr_queue_ptr 0
		.amdhsa_user_sgpr_kernarg_segment_ptr 1
		.amdhsa_user_sgpr_dispatch_id 0
		.amdhsa_user_sgpr_kernarg_preload_length 0
		.amdhsa_user_sgpr_kernarg_preload_offset 0
		.amdhsa_user_sgpr_private_segment_size 0
		.amdhsa_uses_dynamic_stack 0
		.amdhsa_enable_private_segment 0
		.amdhsa_system_sgpr_workgroup_id_x 1
		.amdhsa_system_sgpr_workgroup_id_y 0
		.amdhsa_system_sgpr_workgroup_id_z 0
		.amdhsa_system_sgpr_workgroup_info 0
		.amdhsa_system_vgpr_workitem_id 0
		.amdhsa_next_free_vgpr 10
		.amdhsa_next_free_sgpr 12
		.amdhsa_accum_offset 12
		.amdhsa_reserve_vcc 1
		.amdhsa_float_round_mode_32 0
		.amdhsa_float_round_mode_16_64 0
		.amdhsa_float_denorm_mode_32 3
		.amdhsa_float_denorm_mode_16_64 3
		.amdhsa_dx10_clamp 1
		.amdhsa_ieee_mode 1
		.amdhsa_fp16_overflow 0
		.amdhsa_tg_split 0
		.amdhsa_exception_fp_ieee_invalid_op 0
		.amdhsa_exception_fp_denorm_src 0
		.amdhsa_exception_fp_ieee_div_zero 0
		.amdhsa_exception_fp_ieee_overflow 0
		.amdhsa_exception_fp_ieee_underflow 0
		.amdhsa_exception_fp_ieee_inexact 0
		.amdhsa_exception_int_div_zero 0
	.end_amdhsa_kernel
	.section	.text._ZN7rocprim17ROCPRIM_304000_NS6detail16transform_kernelINS1_24wrapped_transform_configINS0_14default_configEiEEiPiS6_NS0_8identityIiEEEEvT1_mT2_T3_,"axG",@progbits,_ZN7rocprim17ROCPRIM_304000_NS6detail16transform_kernelINS1_24wrapped_transform_configINS0_14default_configEiEEiPiS6_NS0_8identityIiEEEEvT1_mT2_T3_,comdat
.Lfunc_end28:
	.size	_ZN7rocprim17ROCPRIM_304000_NS6detail16transform_kernelINS1_24wrapped_transform_configINS0_14default_configEiEEiPiS6_NS0_8identityIiEEEEvT1_mT2_T3_, .Lfunc_end28-_ZN7rocprim17ROCPRIM_304000_NS6detail16transform_kernelINS1_24wrapped_transform_configINS0_14default_configEiEEiPiS6_NS0_8identityIiEEEEvT1_mT2_T3_
                                        ; -- End function
	.set _ZN7rocprim17ROCPRIM_304000_NS6detail16transform_kernelINS1_24wrapped_transform_configINS0_14default_configEiEEiPiS6_NS0_8identityIiEEEEvT1_mT2_T3_.num_vgpr, 10
	.set _ZN7rocprim17ROCPRIM_304000_NS6detail16transform_kernelINS1_24wrapped_transform_configINS0_14default_configEiEEiPiS6_NS0_8identityIiEEEEvT1_mT2_T3_.num_agpr, 0
	.set _ZN7rocprim17ROCPRIM_304000_NS6detail16transform_kernelINS1_24wrapped_transform_configINS0_14default_configEiEEiPiS6_NS0_8identityIiEEEEvT1_mT2_T3_.numbered_sgpr, 12
	.set _ZN7rocprim17ROCPRIM_304000_NS6detail16transform_kernelINS1_24wrapped_transform_configINS0_14default_configEiEEiPiS6_NS0_8identityIiEEEEvT1_mT2_T3_.num_named_barrier, 0
	.set _ZN7rocprim17ROCPRIM_304000_NS6detail16transform_kernelINS1_24wrapped_transform_configINS0_14default_configEiEEiPiS6_NS0_8identityIiEEEEvT1_mT2_T3_.private_seg_size, 0
	.set _ZN7rocprim17ROCPRIM_304000_NS6detail16transform_kernelINS1_24wrapped_transform_configINS0_14default_configEiEEiPiS6_NS0_8identityIiEEEEvT1_mT2_T3_.uses_vcc, 1
	.set _ZN7rocprim17ROCPRIM_304000_NS6detail16transform_kernelINS1_24wrapped_transform_configINS0_14default_configEiEEiPiS6_NS0_8identityIiEEEEvT1_mT2_T3_.uses_flat_scratch, 0
	.set _ZN7rocprim17ROCPRIM_304000_NS6detail16transform_kernelINS1_24wrapped_transform_configINS0_14default_configEiEEiPiS6_NS0_8identityIiEEEEvT1_mT2_T3_.has_dyn_sized_stack, 0
	.set _ZN7rocprim17ROCPRIM_304000_NS6detail16transform_kernelINS1_24wrapped_transform_configINS0_14default_configEiEEiPiS6_NS0_8identityIiEEEEvT1_mT2_T3_.has_recursion, 0
	.set _ZN7rocprim17ROCPRIM_304000_NS6detail16transform_kernelINS1_24wrapped_transform_configINS0_14default_configEiEEiPiS6_NS0_8identityIiEEEEvT1_mT2_T3_.has_indirect_call, 0
	.section	.AMDGPU.csdata,"",@progbits
; Kernel info:
; codeLenInByte = 340
; TotalNumSgprs: 18
; NumVgprs: 10
; NumAgprs: 0
; TotalNumVgprs: 10
; ScratchSize: 0
; MemoryBound: 0
; FloatMode: 240
; IeeeMode: 1
; LDSByteSize: 0 bytes/workgroup (compile time only)
; SGPRBlocks: 2
; VGPRBlocks: 1
; NumSGPRsForWavesPerEU: 18
; NumVGPRsForWavesPerEU: 10
; AccumOffset: 12
; Occupancy: 8
; WaveLimiterHint : 1
; COMPUTE_PGM_RSRC2:SCRATCH_EN: 0
; COMPUTE_PGM_RSRC2:USER_SGPR: 2
; COMPUTE_PGM_RSRC2:TRAP_HANDLER: 0
; COMPUTE_PGM_RSRC2:TGID_X_EN: 1
; COMPUTE_PGM_RSRC2:TGID_Y_EN: 0
; COMPUTE_PGM_RSRC2:TGID_Z_EN: 0
; COMPUTE_PGM_RSRC2:TIDIG_COMP_CNT: 0
; COMPUTE_PGM_RSRC3_GFX90A:ACCUM_OFFSET: 2
; COMPUTE_PGM_RSRC3_GFX90A:TG_SPLIT: 0
	.section	.text._ZN7rocprim17ROCPRIM_304000_NS6detail18single_scan_kernelILb0ENS1_19wrapped_scan_configINS0_14default_configEiEEPKiPiSt4plusIiEiiEEvT1_mT4_T2_T3_,"axG",@progbits,_ZN7rocprim17ROCPRIM_304000_NS6detail18single_scan_kernelILb0ENS1_19wrapped_scan_configINS0_14default_configEiEEPKiPiSt4plusIiEiiEEvT1_mT4_T2_T3_,comdat
	.protected	_ZN7rocprim17ROCPRIM_304000_NS6detail18single_scan_kernelILb0ENS1_19wrapped_scan_configINS0_14default_configEiEEPKiPiSt4plusIiEiiEEvT1_mT4_T2_T3_ ; -- Begin function _ZN7rocprim17ROCPRIM_304000_NS6detail18single_scan_kernelILb0ENS1_19wrapped_scan_configINS0_14default_configEiEEPKiPiSt4plusIiEiiEEvT1_mT4_T2_T3_
	.globl	_ZN7rocprim17ROCPRIM_304000_NS6detail18single_scan_kernelILb0ENS1_19wrapped_scan_configINS0_14default_configEiEEPKiPiSt4plusIiEiiEEvT1_mT4_T2_T3_
	.p2align	8
	.type	_ZN7rocprim17ROCPRIM_304000_NS6detail18single_scan_kernelILb0ENS1_19wrapped_scan_configINS0_14default_configEiEEPKiPiSt4plusIiEiiEEvT1_mT4_T2_T3_,@function
_ZN7rocprim17ROCPRIM_304000_NS6detail18single_scan_kernelILb0ENS1_19wrapped_scan_configINS0_14default_configEiEEPKiPiSt4plusIiEiiEEvT1_mT4_T2_T3_: ; @_ZN7rocprim17ROCPRIM_304000_NS6detail18single_scan_kernelILb0ENS1_19wrapped_scan_configINS0_14default_configEiEEPKiPiSt4plusIiEiiEEvT1_mT4_T2_T3_
; %bb.0:
	s_load_dwordx4 s[28:31], s[0:1], 0x0
	v_mov_b32_e32 v19, 0
	v_lshlrev_b32_e32 v18, 2, v0
	s_waitcnt lgkmcnt(0)
	s_load_dword s4, s[28:29], 0x0
	v_lshl_add_u64 v[20:21], s[28:29], 0, v[18:19]
	v_cmp_gt_u32_e64 s[2:3], s30, v0
	s_waitcnt lgkmcnt(0)
	s_mov_b32 s5, s4
	s_mov_b32 s6, s4
	;; [unrolled: 1-line block ×13, first 2 shown]
	v_mov_b64_e32 v[2:3], s[4:5]
	v_mov_b64_e32 v[4:5], s[6:7]
	;; [unrolled: 1-line block ×7, first 2 shown]
	v_mov_b32_e32 v1, s4
	v_mov_b64_e32 v[16:17], s[18:19]
	s_and_saveexec_b64 s[6:7], s[2:3]
	s_cbranch_execz .LBB29_2
; %bb.1:
	global_load_dword v1, v[20:21], off
	v_mov_b32_e32 v3, s4
	v_mov_b32_e32 v4, s4
	;; [unrolled: 1-line block ×13, first 2 shown]
.LBB29_2:
	s_or_b64 exec, exec, s[6:7]
	v_or_b32_e32 v2, 0x100, v0
	v_cmp_gt_u32_e64 s[4:5], s30, v2
	s_and_saveexec_b64 s[6:7], s[4:5]
	s_cbranch_execz .LBB29_4
; %bb.3:
	global_load_dword v3, v[20:21], off offset:1024
.LBB29_4:
	s_or_b64 exec, exec, s[6:7]
	v_or_b32_e32 v2, 0x200, v0
	v_cmp_gt_u32_e64 s[6:7], s30, v2
	s_and_saveexec_b64 s[8:9], s[6:7]
	s_cbranch_execz .LBB29_6
; %bb.5:
	global_load_dword v4, v[20:21], off offset:2048
.LBB29_6:
	;; [unrolled: 8-line block ×3, first 2 shown]
	s_or_b64 exec, exec, s[10:11]
	v_or_b32_e32 v2, 0x400, v0
	v_cmp_gt_u32_e64 s[10:11], s30, v2
	s_and_saveexec_b64 s[12:13], s[10:11]
	s_cbranch_execz .LBB29_10
; %bb.9:
	v_add_co_u32_e32 v16, vcc, 0x1000, v20
	s_nop 1
	v_addc_co_u32_e32 v17, vcc, 0, v21, vcc
	global_load_dword v6, v[16:17], off
.LBB29_10:
	s_or_b64 exec, exec, s[12:13]
	v_or_b32_e32 v2, 0x500, v0
	v_cmp_gt_u32_e64 s[12:13], s30, v2
	s_and_saveexec_b64 s[14:15], s[12:13]
	s_cbranch_execz .LBB29_12
; %bb.11:
	v_add_co_u32_e32 v16, vcc, 0x1000, v20
	s_nop 1
	v_addc_co_u32_e32 v17, vcc, 0, v21, vcc
	global_load_dword v7, v[16:17], off offset:1024
.LBB29_12:
	s_or_b64 exec, exec, s[14:15]
	v_or_b32_e32 v2, 0x600, v0
	v_cmp_gt_u32_e64 s[14:15], s30, v2
	s_and_saveexec_b64 s[16:17], s[14:15]
	s_cbranch_execz .LBB29_14
; %bb.13:
	v_add_co_u32_e32 v16, vcc, 0x1000, v20
	s_nop 1
	v_addc_co_u32_e32 v17, vcc, 0, v21, vcc
	global_load_dword v8, v[16:17], off offset:2048
.LBB29_14:
	;; [unrolled: 11-line block ×3, first 2 shown]
	s_or_b64 exec, exec, s[18:19]
	v_or_b32_e32 v2, 0x800, v0
	v_cmp_gt_u32_e64 s[18:19], s30, v2
	s_and_saveexec_b64 s[20:21], s[18:19]
	s_cbranch_execz .LBB29_18
; %bb.17:
	v_add_co_u32_e32 v16, vcc, 0x2000, v20
	s_nop 1
	v_addc_co_u32_e32 v17, vcc, 0, v21, vcc
	global_load_dword v10, v[16:17], off
.LBB29_18:
	s_or_b64 exec, exec, s[20:21]
	v_or_b32_e32 v2, 0x900, v0
	v_cmp_gt_u32_e64 s[20:21], s30, v2
	s_and_saveexec_b64 s[22:23], s[20:21]
	s_cbranch_execz .LBB29_20
; %bb.19:
	v_add_co_u32_e32 v16, vcc, 0x2000, v20
	s_nop 1
	v_addc_co_u32_e32 v17, vcc, 0, v21, vcc
	global_load_dword v11, v[16:17], off offset:1024
.LBB29_20:
	s_or_b64 exec, exec, s[22:23]
	v_or_b32_e32 v2, 0xa00, v0
	v_cmp_gt_u32_e64 s[22:23], s30, v2
	s_and_saveexec_b64 s[24:25], s[22:23]
	s_cbranch_execz .LBB29_22
; %bb.21:
	v_add_co_u32_e32 v16, vcc, 0x2000, v20
	s_nop 1
	v_addc_co_u32_e32 v17, vcc, 0, v21, vcc
	global_load_dword v12, v[16:17], off offset:2048
.LBB29_22:
	;; [unrolled: 11-line block ×3, first 2 shown]
	s_or_b64 exec, exec, s[26:27]
	v_or_b32_e32 v2, 0xc00, v0
	v_cmp_gt_u32_e64 s[26:27], s30, v2
	s_and_saveexec_b64 s[28:29], s[26:27]
	s_cbranch_execz .LBB29_26
; %bb.25:
	v_add_co_u32_e32 v16, vcc, 0x3000, v20
	s_nop 1
	v_addc_co_u32_e32 v17, vcc, 0, v21, vcc
	global_load_dword v14, v[16:17], off
.LBB29_26:
	s_or_b64 exec, exec, s[28:29]
	v_or_b32_e32 v2, 0xd00, v0
	v_cmp_gt_u32_e64 s[28:29], s30, v2
	s_and_saveexec_b64 s[30:31], s[28:29]
	s_cbranch_execz .LBB29_28
; %bb.27:
	v_add_co_u32_e32 v16, vcc, 0x3000, v20
	s_nop 1
	v_addc_co_u32_e32 v17, vcc, 0, v21, vcc
	global_load_dword v15, v[16:17], off offset:1024
.LBB29_28:
	s_or_b64 exec, exec, s[30:31]
	s_waitcnt vmcnt(0)
	ds_write2st64_b32 v18, v1, v3 offset1:4
	ds_write2st64_b32 v18, v4, v5 offset0:8 offset1:12
	ds_write2st64_b32 v18, v6, v7 offset0:16 offset1:20
	;; [unrolled: 1-line block ×6, first 2 shown]
	v_mad_u32_u24 v1, v0, 52, v18
	s_waitcnt lgkmcnt(0)
	s_barrier
	ds_read2_b64 v[10:13], v1 offset1:1
	ds_read2_b64 v[6:9], v1 offset0:2 offset1:3
	ds_read2_b64 v[2:5], v1 offset0:4 offset1:5
	ds_read_b64 v[14:15], v1 offset:48
	s_waitcnt lgkmcnt(0)
	v_add_u32_e32 v1, v11, v10
	v_add3_u32 v1, v1, v12, v13
	v_add3_u32 v1, v1, v6, v7
	;; [unrolled: 1-line block ×6, first 2 shown]
	v_mbcnt_lo_u32_b32 v1, -1, 0
	v_mbcnt_hi_u32_b32 v1, -1, v1
	v_and_b32_e32 v17, 15, v1
	v_mov_b32_dpp v19, v16 row_shr:1 row_mask:0xf bank_mask:0xf
	v_cmp_ne_u32_e32 vcc, 0, v17
	s_barrier
	s_nop 0
	v_cndmask_b32_e32 v19, 0, v19, vcc
	v_add_u32_e32 v16, v19, v16
	v_cmp_lt_u32_e32 vcc, 1, v17
	s_nop 0
	v_mov_b32_dpp v19, v16 row_shr:2 row_mask:0xf bank_mask:0xf
	v_cndmask_b32_e32 v19, 0, v19, vcc
	v_add_u32_e32 v16, v16, v19
	v_cmp_lt_u32_e32 vcc, 3, v17
	s_nop 0
	v_mov_b32_dpp v19, v16 row_shr:4 row_mask:0xf bank_mask:0xf
	;; [unrolled: 5-line block ×3, first 2 shown]
	v_cndmask_b32_e32 v17, 0, v19, vcc
	v_add_u32_e32 v16, v16, v17
	v_bfe_i32 v19, v1, 4, 1
	v_cmp_lt_u32_e32 vcc, 31, v1
	v_mov_b32_dpp v17, v16 row_bcast:15 row_mask:0xf bank_mask:0xf
	v_and_b32_e32 v17, v19, v17
	v_add_u32_e32 v16, v16, v17
	v_lshrrev_b32_e32 v19, 6, v0
	s_nop 0
	v_mov_b32_dpp v17, v16 row_bcast:31 row_mask:0xf bank_mask:0xf
	v_cndmask_b32_e32 v17, 0, v17, vcc
	v_add_u32_e32 v16, v16, v17
	v_or_b32_e32 v17, 63, v0
	v_cmp_eq_u32_e32 vcc, v0, v17
	s_and_saveexec_b64 s[30:31], vcc
; %bb.29:
	v_lshlrev_b32_e32 v17, 2, v19
	ds_write_b32 v17, v16
; %bb.30:
	s_or_b64 exec, exec, s[30:31]
	v_cmp_gt_u32_e32 vcc, 4, v0
	s_waitcnt lgkmcnt(0)
	s_barrier
	s_and_saveexec_b64 s[30:31], vcc
	s_cbranch_execz .LBB29_32
; %bb.31:
	ds_read_b32 v17, v18
	v_and_b32_e32 v20, 3, v1
	v_cmp_ne_u32_e32 vcc, 0, v20
	s_waitcnt lgkmcnt(0)
	v_mov_b32_dpp v21, v17 row_shr:1 row_mask:0xf bank_mask:0xf
	v_cndmask_b32_e32 v21, 0, v21, vcc
	v_add_u32_e32 v17, v21, v17
	v_cmp_lt_u32_e32 vcc, 1, v20
	s_nop 0
	v_mov_b32_dpp v21, v17 row_shr:2 row_mask:0xf bank_mask:0xf
	v_cndmask_b32_e32 v20, 0, v21, vcc
	v_add_u32_e32 v17, v17, v20
	ds_write_b32 v18, v17
.LBB29_32:
	s_or_b64 exec, exec, s[30:31]
	v_mul_u32_u24_e32 v17, 52, v0
	v_cmp_lt_u32_e32 vcc, 63, v0
	s_waitcnt lgkmcnt(0)
	s_barrier
                                        ; implicit-def: $vgpr20
	s_and_saveexec_b64 s[30:31], vcc
	s_cbranch_execz .LBB29_34
; %bb.33:
	v_lshl_add_u32 v19, v19, 2, -4
	ds_read_b32 v20, v19
	s_waitcnt lgkmcnt(0)
	v_add_u32_e32 v16, v20, v16
.LBB29_34:
	s_or_b64 exec, exec, s[30:31]
	v_subrev_co_u32_e32 v19, vcc, 1, v1
	v_and_b32_e32 v21, 64, v1
	v_cmp_lt_i32_e64 s[30:31], v19, v21
	s_barrier
	s_nop 0
	v_cndmask_b32_e64 v1, v19, v1, s[30:31]
	v_lshlrev_b32_e32 v1, 2, v1
	ds_bpermute_b32 v1, v1, v16
	s_waitcnt lgkmcnt(0)
	s_load_dwordx2 s[0:1], s[0:1], 0x18
	v_mov_b32_e32 v19, 0
	v_cndmask_b32_e32 v1, v1, v20, vcc
	v_cmp_ne_u32_e32 vcc, 0, v0
	s_nop 1
	v_cndmask_b32_e32 v0, 0, v1, vcc
	v_add_u32_e32 v0, v0, v10
	v_add_u32_e32 v1, v0, v11
	;; [unrolled: 1-line block ×15, first 2 shown]
	ds_write2_b64 v14, v[0:1], v[10:11] offset1:1
	ds_write2_b64 v14, v[6:7], v[8:9] offset0:2 offset1:3
	ds_write2_b64 v14, v[2:3], v[4:5] offset0:4 offset1:5
	ds_write_b64 v14, v[12:13] offset:48
	s_waitcnt lgkmcnt(0)
	s_barrier
	ds_read2st64_b32 v[12:13], v18 offset0:4 offset1:8
	ds_read2st64_b32 v[10:11], v18 offset0:12 offset1:16
	;; [unrolled: 1-line block ×6, first 2 shown]
	ds_read_b32 v14, v18 offset:13312
	v_lshl_add_u64 v[0:1], s[0:1], 0, v[18:19]
	s_and_saveexec_b64 s[0:1], s[2:3]
	s_cbranch_execnz .LBB29_49
; %bb.35:
	s_or_b64 exec, exec, s[0:1]
	s_and_saveexec_b64 s[0:1], s[4:5]
	s_cbranch_execnz .LBB29_50
.LBB29_36:
	s_or_b64 exec, exec, s[0:1]
	s_and_saveexec_b64 s[0:1], s[6:7]
	s_cbranch_execnz .LBB29_51
.LBB29_37:
	s_or_b64 exec, exec, s[0:1]
	s_and_saveexec_b64 s[0:1], s[8:9]
	s_cbranch_execnz .LBB29_52
.LBB29_38:
	s_or_b64 exec, exec, s[0:1]
	s_and_saveexec_b64 s[0:1], s[10:11]
	s_cbranch_execnz .LBB29_53
.LBB29_39:
	s_or_b64 exec, exec, s[0:1]
	s_and_saveexec_b64 s[0:1], s[12:13]
	s_cbranch_execnz .LBB29_54
.LBB29_40:
	s_or_b64 exec, exec, s[0:1]
	s_and_saveexec_b64 s[0:1], s[14:15]
	s_cbranch_execnz .LBB29_55
.LBB29_41:
	s_or_b64 exec, exec, s[0:1]
	s_and_saveexec_b64 s[0:1], s[16:17]
	s_cbranch_execnz .LBB29_56
.LBB29_42:
	s_or_b64 exec, exec, s[0:1]
	s_and_saveexec_b64 s[0:1], s[18:19]
	s_cbranch_execnz .LBB29_57
.LBB29_43:
	s_or_b64 exec, exec, s[0:1]
	s_and_saveexec_b64 s[0:1], s[20:21]
	s_cbranch_execnz .LBB29_58
.LBB29_44:
	s_or_b64 exec, exec, s[0:1]
	s_and_saveexec_b64 s[0:1], s[22:23]
	s_cbranch_execnz .LBB29_59
.LBB29_45:
	s_or_b64 exec, exec, s[0:1]
	s_and_saveexec_b64 s[0:1], s[24:25]
	s_cbranch_execnz .LBB29_60
.LBB29_46:
	s_or_b64 exec, exec, s[0:1]
	s_and_saveexec_b64 s[0:1], s[26:27]
	s_cbranch_execnz .LBB29_61
.LBB29_47:
	s_or_b64 exec, exec, s[0:1]
	s_and_saveexec_b64 s[0:1], s[28:29]
	s_cbranch_execnz .LBB29_62
.LBB29_48:
	s_endpgm
.LBB29_49:
	ds_read_b32 v15, v18
	s_waitcnt lgkmcnt(0)
	global_store_dword v[0:1], v15, off
	s_or_b64 exec, exec, s[0:1]
	s_and_saveexec_b64 s[0:1], s[4:5]
	s_cbranch_execz .LBB29_36
.LBB29_50:
	s_waitcnt lgkmcnt(6)
	global_store_dword v[0:1], v12, off offset:1024
	s_or_b64 exec, exec, s[0:1]
	s_and_saveexec_b64 s[0:1], s[6:7]
	s_cbranch_execz .LBB29_37
.LBB29_51:
	s_waitcnt lgkmcnt(6)
	global_store_dword v[0:1], v13, off offset:2048
	s_or_b64 exec, exec, s[0:1]
	s_and_saveexec_b64 s[0:1], s[8:9]
	s_cbranch_execz .LBB29_38
.LBB29_52:
	s_waitcnt lgkmcnt(5)
	global_store_dword v[0:1], v10, off offset:3072
	s_or_b64 exec, exec, s[0:1]
	s_and_saveexec_b64 s[0:1], s[10:11]
	s_cbranch_execz .LBB29_39
.LBB29_53:
	s_waitcnt lgkmcnt(6)
	v_add_co_u32_e32 v12, vcc, 0x1000, v0
	s_nop 1
	v_addc_co_u32_e32 v13, vcc, 0, v1, vcc
	s_waitcnt lgkmcnt(5)
	global_store_dword v[12:13], v11, off
	s_or_b64 exec, exec, s[0:1]
	s_and_saveexec_b64 s[0:1], s[12:13]
	s_cbranch_execz .LBB29_40
.LBB29_54:
	s_waitcnt lgkmcnt(5)
	v_add_co_u32_e32 v10, vcc, 0x1000, v0
	s_nop 1
	v_addc_co_u32_e32 v11, vcc, 0, v1, vcc
	s_waitcnt lgkmcnt(4)
	global_store_dword v[10:11], v8, off offset:1024
	s_or_b64 exec, exec, s[0:1]
	s_and_saveexec_b64 s[0:1], s[14:15]
	s_cbranch_execz .LBB29_41
.LBB29_55:
	s_waitcnt lgkmcnt(5)
	v_add_co_u32_e32 v10, vcc, 0x1000, v0
	s_nop 1
	v_addc_co_u32_e32 v11, vcc, 0, v1, vcc
	s_waitcnt lgkmcnt(4)
	global_store_dword v[10:11], v9, off offset:2048
	s_or_b64 exec, exec, s[0:1]
	s_and_saveexec_b64 s[0:1], s[16:17]
	s_cbranch_execz .LBB29_42
.LBB29_56:
	s_waitcnt lgkmcnt(4)
	v_add_co_u32_e32 v8, vcc, 0x1000, v0
	s_nop 1
	v_addc_co_u32_e32 v9, vcc, 0, v1, vcc
	s_waitcnt lgkmcnt(3)
	global_store_dword v[8:9], v6, off offset:3072
	s_or_b64 exec, exec, s[0:1]
	s_and_saveexec_b64 s[0:1], s[18:19]
	s_cbranch_execz .LBB29_43
.LBB29_57:
	s_waitcnt lgkmcnt(4)
	v_add_co_u32_e32 v8, vcc, 0x2000, v0
	s_nop 1
	v_addc_co_u32_e32 v9, vcc, 0, v1, vcc
	s_waitcnt lgkmcnt(3)
	global_store_dword v[8:9], v7, off
	s_or_b64 exec, exec, s[0:1]
	s_and_saveexec_b64 s[0:1], s[20:21]
	s_cbranch_execz .LBB29_44
.LBB29_58:
	s_waitcnt lgkmcnt(3)
	v_add_co_u32_e32 v6, vcc, 0x2000, v0
	s_nop 1
	v_addc_co_u32_e32 v7, vcc, 0, v1, vcc
	s_waitcnt lgkmcnt(2)
	global_store_dword v[6:7], v4, off offset:1024
	s_or_b64 exec, exec, s[0:1]
	s_and_saveexec_b64 s[0:1], s[22:23]
	s_cbranch_execz .LBB29_45
.LBB29_59:
	s_waitcnt lgkmcnt(3)
	v_add_co_u32_e32 v6, vcc, 0x2000, v0
	s_nop 1
	v_addc_co_u32_e32 v7, vcc, 0, v1, vcc
	s_waitcnt lgkmcnt(2)
	global_store_dword v[6:7], v5, off offset:2048
	s_or_b64 exec, exec, s[0:1]
	s_and_saveexec_b64 s[0:1], s[24:25]
	s_cbranch_execz .LBB29_46
.LBB29_60:
	s_waitcnt lgkmcnt(2)
	v_add_co_u32_e32 v4, vcc, 0x2000, v0
	s_nop 1
	v_addc_co_u32_e32 v5, vcc, 0, v1, vcc
	s_waitcnt lgkmcnt(1)
	global_store_dword v[4:5], v2, off offset:3072
	s_or_b64 exec, exec, s[0:1]
	s_and_saveexec_b64 s[0:1], s[26:27]
	s_cbranch_execz .LBB29_47
.LBB29_61:
	s_waitcnt lgkmcnt(2)
	v_add_co_u32_e32 v4, vcc, 0x3000, v0
	s_nop 1
	v_addc_co_u32_e32 v5, vcc, 0, v1, vcc
	s_waitcnt lgkmcnt(1)
	global_store_dword v[4:5], v3, off
	s_or_b64 exec, exec, s[0:1]
	s_and_saveexec_b64 s[0:1], s[28:29]
	s_cbranch_execz .LBB29_48
.LBB29_62:
	v_add_co_u32_e32 v0, vcc, 0x3000, v0
	s_nop 1
	v_addc_co_u32_e32 v1, vcc, 0, v1, vcc
	s_waitcnt lgkmcnt(0)
	global_store_dword v[0:1], v14, off offset:1024
	s_endpgm
	.section	.rodata,"a",@progbits
	.p2align	6, 0x0
	.amdhsa_kernel _ZN7rocprim17ROCPRIM_304000_NS6detail18single_scan_kernelILb0ENS1_19wrapped_scan_configINS0_14default_configEiEEPKiPiSt4plusIiEiiEEvT1_mT4_T2_T3_
		.amdhsa_group_segment_fixed_size 14336
		.amdhsa_private_segment_fixed_size 0
		.amdhsa_kernarg_size 36
		.amdhsa_user_sgpr_count 2
		.amdhsa_user_sgpr_dispatch_ptr 0
		.amdhsa_user_sgpr_queue_ptr 0
		.amdhsa_user_sgpr_kernarg_segment_ptr 1
		.amdhsa_user_sgpr_dispatch_id 0
		.amdhsa_user_sgpr_kernarg_preload_length 0
		.amdhsa_user_sgpr_kernarg_preload_offset 0
		.amdhsa_user_sgpr_private_segment_size 0
		.amdhsa_uses_dynamic_stack 0
		.amdhsa_enable_private_segment 0
		.amdhsa_system_sgpr_workgroup_id_x 1
		.amdhsa_system_sgpr_workgroup_id_y 0
		.amdhsa_system_sgpr_workgroup_id_z 0
		.amdhsa_system_sgpr_workgroup_info 0
		.amdhsa_system_vgpr_workitem_id 0
		.amdhsa_next_free_vgpr 22
		.amdhsa_next_free_sgpr 32
		.amdhsa_accum_offset 24
		.amdhsa_reserve_vcc 1
		.amdhsa_float_round_mode_32 0
		.amdhsa_float_round_mode_16_64 0
		.amdhsa_float_denorm_mode_32 3
		.amdhsa_float_denorm_mode_16_64 3
		.amdhsa_dx10_clamp 1
		.amdhsa_ieee_mode 1
		.amdhsa_fp16_overflow 0
		.amdhsa_tg_split 0
		.amdhsa_exception_fp_ieee_invalid_op 0
		.amdhsa_exception_fp_denorm_src 0
		.amdhsa_exception_fp_ieee_div_zero 0
		.amdhsa_exception_fp_ieee_overflow 0
		.amdhsa_exception_fp_ieee_underflow 0
		.amdhsa_exception_fp_ieee_inexact 0
		.amdhsa_exception_int_div_zero 0
	.end_amdhsa_kernel
	.section	.text._ZN7rocprim17ROCPRIM_304000_NS6detail18single_scan_kernelILb0ENS1_19wrapped_scan_configINS0_14default_configEiEEPKiPiSt4plusIiEiiEEvT1_mT4_T2_T3_,"axG",@progbits,_ZN7rocprim17ROCPRIM_304000_NS6detail18single_scan_kernelILb0ENS1_19wrapped_scan_configINS0_14default_configEiEEPKiPiSt4plusIiEiiEEvT1_mT4_T2_T3_,comdat
.Lfunc_end29:
	.size	_ZN7rocprim17ROCPRIM_304000_NS6detail18single_scan_kernelILb0ENS1_19wrapped_scan_configINS0_14default_configEiEEPKiPiSt4plusIiEiiEEvT1_mT4_T2_T3_, .Lfunc_end29-_ZN7rocprim17ROCPRIM_304000_NS6detail18single_scan_kernelILb0ENS1_19wrapped_scan_configINS0_14default_configEiEEPKiPiSt4plusIiEiiEEvT1_mT4_T2_T3_
                                        ; -- End function
	.set _ZN7rocprim17ROCPRIM_304000_NS6detail18single_scan_kernelILb0ENS1_19wrapped_scan_configINS0_14default_configEiEEPKiPiSt4plusIiEiiEEvT1_mT4_T2_T3_.num_vgpr, 22
	.set _ZN7rocprim17ROCPRIM_304000_NS6detail18single_scan_kernelILb0ENS1_19wrapped_scan_configINS0_14default_configEiEEPKiPiSt4plusIiEiiEEvT1_mT4_T2_T3_.num_agpr, 0
	.set _ZN7rocprim17ROCPRIM_304000_NS6detail18single_scan_kernelILb0ENS1_19wrapped_scan_configINS0_14default_configEiEEPKiPiSt4plusIiEiiEEvT1_mT4_T2_T3_.numbered_sgpr, 32
	.set _ZN7rocprim17ROCPRIM_304000_NS6detail18single_scan_kernelILb0ENS1_19wrapped_scan_configINS0_14default_configEiEEPKiPiSt4plusIiEiiEEvT1_mT4_T2_T3_.num_named_barrier, 0
	.set _ZN7rocprim17ROCPRIM_304000_NS6detail18single_scan_kernelILb0ENS1_19wrapped_scan_configINS0_14default_configEiEEPKiPiSt4plusIiEiiEEvT1_mT4_T2_T3_.private_seg_size, 0
	.set _ZN7rocprim17ROCPRIM_304000_NS6detail18single_scan_kernelILb0ENS1_19wrapped_scan_configINS0_14default_configEiEEPKiPiSt4plusIiEiiEEvT1_mT4_T2_T3_.uses_vcc, 1
	.set _ZN7rocprim17ROCPRIM_304000_NS6detail18single_scan_kernelILb0ENS1_19wrapped_scan_configINS0_14default_configEiEEPKiPiSt4plusIiEiiEEvT1_mT4_T2_T3_.uses_flat_scratch, 0
	.set _ZN7rocprim17ROCPRIM_304000_NS6detail18single_scan_kernelILb0ENS1_19wrapped_scan_configINS0_14default_configEiEEPKiPiSt4plusIiEiiEEvT1_mT4_T2_T3_.has_dyn_sized_stack, 0
	.set _ZN7rocprim17ROCPRIM_304000_NS6detail18single_scan_kernelILb0ENS1_19wrapped_scan_configINS0_14default_configEiEEPKiPiSt4plusIiEiiEEvT1_mT4_T2_T3_.has_recursion, 0
	.set _ZN7rocprim17ROCPRIM_304000_NS6detail18single_scan_kernelILb0ENS1_19wrapped_scan_configINS0_14default_configEiEEPKiPiSt4plusIiEiiEEvT1_mT4_T2_T3_.has_indirect_call, 0
	.section	.AMDGPU.csdata,"",@progbits
; Kernel info:
; codeLenInByte = 2284
; TotalNumSgprs: 38
; NumVgprs: 22
; NumAgprs: 0
; TotalNumVgprs: 22
; ScratchSize: 0
; MemoryBound: 0
; FloatMode: 240
; IeeeMode: 1
; LDSByteSize: 14336 bytes/workgroup (compile time only)
; SGPRBlocks: 4
; VGPRBlocks: 2
; NumSGPRsForWavesPerEU: 38
; NumVGPRsForWavesPerEU: 22
; AccumOffset: 24
; Occupancy: 8
; WaveLimiterHint : 0
; COMPUTE_PGM_RSRC2:SCRATCH_EN: 0
; COMPUTE_PGM_RSRC2:USER_SGPR: 2
; COMPUTE_PGM_RSRC2:TRAP_HANDLER: 0
; COMPUTE_PGM_RSRC2:TGID_X_EN: 1
; COMPUTE_PGM_RSRC2:TGID_Y_EN: 0
; COMPUTE_PGM_RSRC2:TGID_Z_EN: 0
; COMPUTE_PGM_RSRC2:TIDIG_COMP_CNT: 0
; COMPUTE_PGM_RSRC3_GFX90A:ACCUM_OFFSET: 5
; COMPUTE_PGM_RSRC3_GFX90A:TG_SPLIT: 0
	.section	.text._ZN2at6native32tensor_kernel_scan_innermost_dimIiSt4plusIiEEEvPT_PKS4_jjjS4_T0_,"axG",@progbits,_ZN2at6native32tensor_kernel_scan_innermost_dimIiSt4plusIiEEEvPT_PKS4_jjjS4_T0_,comdat
	.protected	_ZN2at6native32tensor_kernel_scan_innermost_dimIiSt4plusIiEEEvPT_PKS4_jjjS4_T0_ ; -- Begin function _ZN2at6native32tensor_kernel_scan_innermost_dimIiSt4plusIiEEEvPT_PKS4_jjjS4_T0_
	.globl	_ZN2at6native32tensor_kernel_scan_innermost_dimIiSt4plusIiEEEvPT_PKS4_jjjS4_T0_
	.p2align	8
	.type	_ZN2at6native32tensor_kernel_scan_innermost_dimIiSt4plusIiEEEvPT_PKS4_jjjS4_T0_,@function
_ZN2at6native32tensor_kernel_scan_innermost_dimIiSt4plusIiEEEvPT_PKS4_jjjS4_T0_: ; @_ZN2at6native32tensor_kernel_scan_innermost_dimIiSt4plusIiEEEvPT_PKS4_jjjS4_T0_
; %bb.0:
	s_load_dwordx8 s[12:19], s[0:1], 0x0
	v_bfe_u32 v2, v0, 10, 10
	s_waitcnt lgkmcnt(0)
	s_lshl_b32 s3, 2, s18
	s_mul_hi_u32 s4, s16, s17
	v_mul_lo_u32 v1, s3, v2
	v_lshl_add_u32 v18, v1, 2, 0
	s_cmp_lg_u32 s4, 0
	s_mov_b64 s[4:5], -1
	s_cbranch_scc1 .LBB30_26
; %bb.1:
	s_load_dword s6, s[0:1], 0x34
	s_add_u32 s4, s0, 40
	s_addc_u32 s5, s1, 0
	s_waitcnt lgkmcnt(0)
	s_lshr_b32 s6, s6, 16
	s_mul_i32 s24, s2, s6
	s_cmp_ge_u32 s24, s16
	s_cbranch_scc1 .LBB30_25
; %bb.2:
	s_load_dword s26, s[4:5], 0x0
	s_lshl_b32 s25, 1, s18
	s_cmp_lg_u32 s17, 0
	s_cselect_b64 s[10:11], -1, 0
	v_and_b32_e32 v1, 0x3ff, v0
	v_lshl_add_u32 v3, v1, 2, v18
	s_lshl_b32 s4, s3, 2
	v_cndmask_b32_e64 v4, 0, 1, s[10:11]
	v_lshl_add_u32 v12, s25, 2, v3
	v_cmp_eq_u32_e64 s[8:9], 0, v1
	v_add3_u32 v13, v18, s4, -4
	s_waitcnt lgkmcnt(0)
	s_mul_i32 s26, s26, s6
	s_add_i32 s27, s18, 1
	v_cmp_ne_u32_e64 s[4:5], 1, v4
	v_mov_b32_e32 v5, 0
	s_branch .LBB30_4
.LBB30_3:                               ;   in Loop: Header=BB30_4 Depth=1
	s_add_i32 s24, s24, s26
	s_cmp_ge_u32 s24, s16
	s_cbranch_scc1 .LBB30_25
.LBB30_4:                               ; =>This Loop Header: Depth=1
                                        ;     Child Loop BB30_7 Depth 2
                                        ;       Child Loop BB30_16 Depth 3
	s_and_b64 vcc, exec, s[4:5]
	s_cbranch_vccnz .LBB30_3
; %bb.5:                                ;   in Loop: Header=BB30_4 Depth=1
	v_add_u32_e32 v10, s24, v2
	v_mul_lo_u32 v4, v10, s17
	v_lshlrev_b64 v[8:9], 2, v[4:5]
	v_lshl_add_u64 v[6:7], s[14:15], 0, v[8:9]
	v_lshl_add_u64 v[8:9], s[12:13], 0, v[8:9]
	v_cmp_gt_u32_e32 vcc, s16, v10
	v_cmp_le_u32_e64 s[6:7], s16, v10
	s_mov_b32 s28, 0
	v_mov_b32_e32 v14, s19
	s_branch .LBB30_7
.LBB30_6:                               ;   in Loop: Header=BB30_7 Depth=2
	s_or_b64 exec, exec, s[20:21]
	ds_read_b32 v14, v13
	s_add_i32 s28, s28, s3
	s_cmp_ge_u32 s28, s17
	s_waitcnt lgkmcnt(0)
	s_barrier
	s_cbranch_scc1 .LBB30_3
.LBB30_7:                               ;   Parent Loop BB30_4 Depth=1
                                        ; =>  This Loop Header: Depth=2
                                        ;       Child Loop BB30_16 Depth 3
	v_add_u32_e32 v4, s28, v1
	v_add_u32_e32 v10, s25, v4
	s_and_saveexec_b64 s[20:21], vcc
	s_cbranch_execz .LBB30_14
; %bb.8:                                ;   in Loop: Header=BB30_7 Depth=2
	v_cmp_gt_u32_e64 s[10:11], s17, v4
	v_mov_b32_e32 v11, s19
	s_and_saveexec_b64 s[22:23], s[10:11]
	s_cbranch_execz .LBB30_10
; %bb.9:                                ;   in Loop: Header=BB30_7 Depth=2
	v_lshl_add_u64 v[16:17], v[4:5], 2, v[6:7]
	global_load_dword v11, v[16:17], off
.LBB30_10:                              ;   in Loop: Header=BB30_7 Depth=2
	s_or_b64 exec, exec, s[22:23]
	s_waitcnt vmcnt(0)
	ds_write_b32 v3, v11
	v_cmp_gt_u32_e64 s[10:11], s17, v10
	v_mov_b32_e32 v11, s19
	s_and_saveexec_b64 s[22:23], s[10:11]
	s_cbranch_execz .LBB30_12
; %bb.11:                               ;   in Loop: Header=BB30_7 Depth=2
	v_mov_b32_e32 v11, v5
	v_lshl_add_u64 v[16:17], v[10:11], 2, v[6:7]
	global_load_dword v11, v[16:17], off
.LBB30_12:                              ;   in Loop: Header=BB30_7 Depth=2
	s_or_b64 exec, exec, s[22:23]
	s_waitcnt vmcnt(0)
	ds_write_b32 v12, v11
	s_and_b64 exec, exec, s[8:9]
	s_cbranch_execz .LBB30_14
; %bb.13:                               ;   in Loop: Header=BB30_7 Depth=2
	ds_read_b32 v11, v18
	s_waitcnt lgkmcnt(0)
	v_add_u32_e32 v11, v11, v14
	ds_write_b32 v18, v11
.LBB30_14:                              ;   in Loop: Header=BB30_7 Depth=2
	s_or_b64 exec, exec, s[20:21]
	v_mov_b32_e32 v11, 0
	s_mov_b64 s[20:21], 0
	s_waitcnt lgkmcnt(0)
	s_barrier
	s_branch .LBB30_16
.LBB30_15:                              ;   in Loop: Header=BB30_16 Depth=3
	s_or_b64 exec, exec, s[10:11]
	v_cmp_eq_u32_e64 s[10:11], s27, v11
	s_or_b64 s[20:21], s[10:11], s[20:21]
	s_waitcnt lgkmcnt(0)
	s_barrier
	s_andn2_b64 exec, exec, s[20:21]
	s_cbranch_execz .LBB30_20
.LBB30_16:                              ;   Parent Loop BB30_4 Depth=1
                                        ;     Parent Loop BB30_7 Depth=2
                                        ; =>    This Inner Loop Header: Depth=3
	v_add_u32_e32 v14, 1, v11
	s_and_saveexec_b64 s[10:11], s[6:7]
	s_xor_b64 s[10:11], exec, s[10:11]
; %bb.17:                               ;   in Loop: Header=BB30_16 Depth=3
	v_add_u32_e32 v11, 1, v11
                                        ; implicit-def: $vgpr14
; %bb.18:                               ;   in Loop: Header=BB30_16 Depth=3
	s_andn2_saveexec_b64 s[10:11], s[10:11]
	s_cbranch_execz .LBB30_15
; %bb.19:                               ;   in Loop: Header=BB30_16 Depth=3
	v_lshlrev_b32_e64 v15, v11, 1
	v_lshrrev_b32_e32 v16, v11, v1
	v_lshl_or_b32 v15, v16, v14, v15
	v_bfm_b32 v11, v11, 0
	v_and_b32_e32 v11, v11, v1
	v_lshl_add_u32 v15, v15, 2, v18
	v_lshl_add_u32 v11, v11, 2, v15
	v_add_u32_e32 v15, -4, v15
	ds_read_b32 v16, v11
	ds_read_b32 v15, v15
	s_waitcnt lgkmcnt(0)
	v_add_u32_e32 v15, v15, v16
	ds_write_b32 v11, v15
	v_mov_b32_e32 v11, v14
	s_branch .LBB30_15
.LBB30_20:                              ;   in Loop: Header=BB30_7 Depth=2
	s_or_b64 exec, exec, s[20:21]
	s_and_saveexec_b64 s[20:21], vcc
	s_cbranch_execz .LBB30_6
; %bb.21:                               ;   in Loop: Header=BB30_7 Depth=2
	v_cmp_gt_u32_e64 s[10:11], s17, v4
	s_and_saveexec_b64 s[22:23], s[10:11]
	s_cbranch_execz .LBB30_23
; %bb.22:                               ;   in Loop: Header=BB30_7 Depth=2
	ds_read_b32 v11, v3
	v_lshl_add_u64 v[14:15], v[4:5], 2, v[8:9]
	s_waitcnt lgkmcnt(0)
	global_store_dword v[14:15], v11, off
.LBB30_23:                              ;   in Loop: Header=BB30_7 Depth=2
	s_or_b64 exec, exec, s[22:23]
	v_cmp_gt_u32_e64 s[10:11], s17, v10
	s_and_b64 exec, exec, s[10:11]
	s_cbranch_execz .LBB30_6
; %bb.24:                               ;   in Loop: Header=BB30_7 Depth=2
	ds_read_b32 v4, v12
	v_mov_b32_e32 v11, v5
	v_lshl_add_u64 v[10:11], v[10:11], 2, v[8:9]
	s_waitcnt lgkmcnt(0)
	global_store_dword v[10:11], v4, off
	s_branch .LBB30_6
.LBB30_25:
	s_mov_b64 s[4:5], 0
.LBB30_26:
	s_andn2_b64 vcc, exec, s[4:5]
	s_cbranch_vccnz .LBB30_53
; %bb.27:
	s_load_dword s3, s[0:1], 0x34
	s_add_u32 s0, s0, 40
	s_mov_b32 s9, 0
	s_addc_u32 s1, s1, 0
	s_mov_b32 s8, s16
	s_waitcnt lgkmcnt(0)
	s_lshr_b32 s3, s3, 16
	s_mul_hi_u32 s11, s3, s2
	s_mul_i32 s10, s3, s2
	v_mov_b64_e32 v[4:5], s[8:9]
	v_cmp_ge_u64_e32 vcc, s[10:11], v[4:5]
	s_cbranch_vccnz .LBB30_53
; %bb.28:
	s_lshl_b32 s20, 1, s18
	s_load_dword s5, s[0:1], 0x0
	s_and_b32 s4, 0xffff, s3
	s_ashr_i32 s21, s20, 31
	s_cmp_lg_u32 s17, 0
	s_mov_b32 s22, s17
	s_cselect_b64 s[2:3], -1, 0
	v_and_b32_e32 v0, 0x3ff, v0
	s_lshl_b64 s[16:17], s[20:21], 1
	v_mov_b32_e32 v3, 0
	v_lshl_add_u32 v19, v0, 2, v18
	s_lshl_b32 s6, s16, 2
	v_cndmask_b32_e64 v4, 0, 1, s[2:3]
	s_mov_b32 s23, s9
	v_mov_b32_e32 v1, v3
	v_lshl_add_u32 v20, s20, 2, v19
	v_cmp_eq_u32_e64 s[0:1], 0, v0
	v_add3_u32 v21, v18, s6, -4
	s_waitcnt lgkmcnt(0)
	s_mul_i32 s33, s5, s4
	s_add_i32 s18, s18, 1
	v_cmp_ne_u32_e64 s[2:3], 1, v4
	v_mov_b64_e32 v[4:5], s[8:9]
	s_branch .LBB30_30
.LBB30_29:                              ;   in Loop: Header=BB30_30 Depth=1
	s_add_u32 s10, s10, s33
	s_addc_u32 s11, s11, 0
	v_cmp_ge_u64_e32 vcc, s[10:11], v[4:5]
	s_cbranch_vccnz .LBB30_53
.LBB30_30:                              ; =>This Loop Header: Depth=1
                                        ;     Child Loop BB30_33 Depth 2
                                        ;       Child Loop BB30_43 Depth 3
	s_and_b64 vcc, exec, s[2:3]
	s_cbranch_vccnz .LBB30_29
; %bb.31:                               ;   in Loop: Header=BB30_30 Depth=1
	v_lshl_add_u64 v[10:11], s[10:11], 0, v[2:3]
	v_mad_u64_u32 v[6:7], s[4:5], v10, s22, 0
	v_mov_b32_e32 v8, v7
	v_mad_u64_u32 v[8:9], s[4:5], v11, s22, v[8:9]
	v_mov_b32_e32 v7, v8
	v_lshlrev_b64 v[8:9], 2, v[6:7]
	v_lshl_add_u64 v[6:7], s[14:15], 0, v[8:9]
	v_lshl_add_u64 v[8:9], s[12:13], 0, v[8:9]
	v_cmp_gt_u64_e64 s[4:5], s[8:9], v[10:11]
	v_cmp_le_u64_e64 s[6:7], s[8:9], v[10:11]
	s_mov_b64 s[24:25], 0
	v_mov_b32_e32 v14, s19
	s_branch .LBB30_33
.LBB30_32:                              ;   in Loop: Header=BB30_33 Depth=2
	s_or_b64 exec, exec, s[26:27]
	ds_read_b32 v14, v21
	s_add_u32 s24, s24, s16
	s_addc_u32 s25, s25, s17
	v_mov_b64_e32 v[10:11], s[22:23]
	v_cmp_ge_u64_e32 vcc, s[24:25], v[10:11]
	s_waitcnt lgkmcnt(0)
	s_barrier
	s_cbranch_vccnz .LBB30_29
.LBB30_33:                              ;   Parent Loop BB30_30 Depth=1
                                        ; =>  This Loop Header: Depth=2
                                        ;       Child Loop BB30_43 Depth 3
	v_lshl_add_u64 v[12:13], s[24:25], 0, v[0:1]
	v_lshl_add_u64 v[10:11], v[12:13], 0, s[20:21]
	s_and_saveexec_b64 s[26:27], s[4:5]
	s_cbranch_execz .LBB30_40
; %bb.34:                               ;   in Loop: Header=BB30_33 Depth=2
	v_cmp_gt_u64_e32 vcc, s[22:23], v[12:13]
	v_mov_b32_e32 v15, s19
	s_and_saveexec_b64 s[28:29], vcc
	s_cbranch_execz .LBB30_36
; %bb.35:                               ;   in Loop: Header=BB30_33 Depth=2
	v_lshl_add_u64 v[16:17], v[12:13], 2, v[6:7]
	global_load_dword v15, v[16:17], off
.LBB30_36:                              ;   in Loop: Header=BB30_33 Depth=2
	s_or_b64 exec, exec, s[28:29]
	s_waitcnt vmcnt(0)
	ds_write_b32 v19, v15
	v_cmp_gt_u64_e32 vcc, s[22:23], v[10:11]
	v_mov_b32_e32 v15, s19
	s_and_saveexec_b64 s[28:29], vcc
	s_cbranch_execz .LBB30_38
; %bb.37:                               ;   in Loop: Header=BB30_33 Depth=2
	v_lshl_add_u64 v[16:17], v[10:11], 2, v[6:7]
	global_load_dword v15, v[16:17], off
.LBB30_38:                              ;   in Loop: Header=BB30_33 Depth=2
	s_or_b64 exec, exec, s[28:29]
	s_waitcnt vmcnt(0)
	ds_write_b32 v20, v15
	s_and_b64 exec, exec, s[0:1]
	s_cbranch_execz .LBB30_40
; %bb.39:                               ;   in Loop: Header=BB30_33 Depth=2
	ds_read_b32 v15, v18
	s_waitcnt lgkmcnt(0)
	v_add_u32_e32 v14, v15, v14
	ds_write_b32 v18, v14
.LBB30_40:                              ;   in Loop: Header=BB30_33 Depth=2
	s_or_b64 exec, exec, s[26:27]
	v_mov_b32_e32 v23, 0
	s_mov_b64 s[26:27], 0
	s_waitcnt lgkmcnt(0)
	s_barrier
	s_branch .LBB30_43
.LBB30_41:                              ;   in Loop: Header=BB30_43 Depth=3
	s_or_b64 exec, exec, s[30:31]
	v_lshrrev_b32_e32 v15, v23, v0
	v_lshl_or_b32 v14, v15, v22, v14
	v_lshl_add_u32 v14, v14, 2, v18
	v_lshl_add_u32 v15, v16, 2, v14
	v_add_u32_e32 v14, -4, v14
	ds_read_b32 v16, v15
	ds_read_b32 v14, v14
	s_waitcnt lgkmcnt(0)
	v_add_u32_e32 v14, v14, v16
	ds_write_b32 v15, v14
.LBB30_42:                              ;   in Loop: Header=BB30_43 Depth=3
	s_or_b64 exec, exec, s[28:29]
	v_cmp_eq_u32_e32 vcc, s18, v22
	s_or_b64 s[26:27], vcc, s[26:27]
	v_mov_b32_e32 v23, v22
	s_waitcnt lgkmcnt(0)
	s_barrier
	s_andn2_b64 exec, exec, s[26:27]
	s_cbranch_execz .LBB30_48
.LBB30_43:                              ;   Parent Loop BB30_30 Depth=1
                                        ;     Parent Loop BB30_33 Depth=2
                                        ; =>    This Inner Loop Header: Depth=3
	v_add_u32_e32 v22, 1, v23
	s_and_saveexec_b64 s[28:29], s[6:7]
	s_xor_b64 s[28:29], exec, s[28:29]
; %bb.44:                               ;   in Loop: Header=BB30_43 Depth=3
	v_add_u32_e32 v22, 1, v23
                                        ; implicit-def: $vgpr23
; %bb.45:                               ;   in Loop: Header=BB30_43 Depth=3
	s_andn2_saveexec_b64 s[28:29], s[28:29]
	s_cbranch_execz .LBB30_42
; %bb.46:                               ;   in Loop: Header=BB30_43 Depth=3
	v_lshlrev_b32_e64 v14, v23, 1
	v_ashrrev_i32_e32 v15, 31, v14
	v_cmp_ge_u64_e32 vcc, v[0:1], v[14:15]
	v_mov_b64_e32 v[16:17], v[0:1]
	s_and_saveexec_b64 s[30:31], vcc
	s_cbranch_execz .LBB30_41
; %bb.47:                               ;   in Loop: Header=BB30_43 Depth=3
	v_cvt_f32_u32_e32 v15, v14
	v_sub_u32_e32 v16, 0, v14
	v_rcp_iflag_f32_e32 v15, v15
	s_nop 0
	v_mul_f32_e32 v15, 0x4f7ffffe, v15
	v_cvt_u32_f32_e32 v15, v15
	v_mul_lo_u32 v16, v16, v15
	v_mul_hi_u32 v16, v15, v16
	v_add_u32_e32 v15, v15, v16
	v_mul_hi_u32 v15, v0, v15
	v_mul_lo_u32 v15, v15, v14
	v_sub_u32_e32 v15, v0, v15
	v_sub_u32_e32 v16, v15, v14
	v_cmp_ge_u32_e32 vcc, v15, v14
	s_nop 1
	v_cndmask_b32_e32 v15, v15, v16, vcc
	v_sub_u32_e32 v16, v15, v14
	v_cmp_ge_u32_e32 vcc, v15, v14
	s_nop 1
	v_cndmask_b32_e32 v16, v15, v16, vcc
	s_branch .LBB30_41
.LBB30_48:                              ;   in Loop: Header=BB30_33 Depth=2
	s_or_b64 exec, exec, s[26:27]
	s_and_saveexec_b64 s[26:27], s[4:5]
	s_cbranch_execz .LBB30_32
; %bb.49:                               ;   in Loop: Header=BB30_33 Depth=2
	v_cmp_gt_u64_e32 vcc, s[22:23], v[12:13]
	s_and_saveexec_b64 s[28:29], vcc
	s_cbranch_execz .LBB30_51
; %bb.50:                               ;   in Loop: Header=BB30_33 Depth=2
	ds_read_b32 v14, v19
	v_lshl_add_u64 v[12:13], v[12:13], 2, v[8:9]
	s_waitcnt lgkmcnt(0)
	global_store_dword v[12:13], v14, off
.LBB30_51:                              ;   in Loop: Header=BB30_33 Depth=2
	s_or_b64 exec, exec, s[28:29]
	v_cmp_gt_u64_e32 vcc, s[22:23], v[10:11]
	s_and_b64 exec, exec, vcc
	s_cbranch_execz .LBB30_32
; %bb.52:                               ;   in Loop: Header=BB30_33 Depth=2
	ds_read_b32 v12, v20
	v_lshl_add_u64 v[10:11], v[10:11], 2, v[8:9]
	s_waitcnt lgkmcnt(0)
	global_store_dword v[10:11], v12, off
	s_branch .LBB30_32
.LBB30_53:
	s_endpgm
	.section	.rodata,"a",@progbits
	.p2align	6, 0x0
	.amdhsa_kernel _ZN2at6native32tensor_kernel_scan_innermost_dimIiSt4plusIiEEEvPT_PKS4_jjjS4_T0_
		.amdhsa_group_segment_fixed_size 0
		.amdhsa_private_segment_fixed_size 0
		.amdhsa_kernarg_size 296
		.amdhsa_user_sgpr_count 2
		.amdhsa_user_sgpr_dispatch_ptr 0
		.amdhsa_user_sgpr_queue_ptr 0
		.amdhsa_user_sgpr_kernarg_segment_ptr 1
		.amdhsa_user_sgpr_dispatch_id 0
		.amdhsa_user_sgpr_kernarg_preload_length 0
		.amdhsa_user_sgpr_kernarg_preload_offset 0
		.amdhsa_user_sgpr_private_segment_size 0
		.amdhsa_uses_dynamic_stack 0
		.amdhsa_enable_private_segment 0
		.amdhsa_system_sgpr_workgroup_id_x 1
		.amdhsa_system_sgpr_workgroup_id_y 0
		.amdhsa_system_sgpr_workgroup_id_z 0
		.amdhsa_system_sgpr_workgroup_info 0
		.amdhsa_system_vgpr_workitem_id 1
		.amdhsa_next_free_vgpr 24
		.amdhsa_next_free_sgpr 34
		.amdhsa_accum_offset 24
		.amdhsa_reserve_vcc 1
		.amdhsa_float_round_mode_32 0
		.amdhsa_float_round_mode_16_64 0
		.amdhsa_float_denorm_mode_32 3
		.amdhsa_float_denorm_mode_16_64 3
		.amdhsa_dx10_clamp 1
		.amdhsa_ieee_mode 1
		.amdhsa_fp16_overflow 0
		.amdhsa_tg_split 0
		.amdhsa_exception_fp_ieee_invalid_op 0
		.amdhsa_exception_fp_denorm_src 0
		.amdhsa_exception_fp_ieee_div_zero 0
		.amdhsa_exception_fp_ieee_overflow 0
		.amdhsa_exception_fp_ieee_underflow 0
		.amdhsa_exception_fp_ieee_inexact 0
		.amdhsa_exception_int_div_zero 0
	.end_amdhsa_kernel
	.section	.text._ZN2at6native32tensor_kernel_scan_innermost_dimIiSt4plusIiEEEvPT_PKS4_jjjS4_T0_,"axG",@progbits,_ZN2at6native32tensor_kernel_scan_innermost_dimIiSt4plusIiEEEvPT_PKS4_jjjS4_T0_,comdat
.Lfunc_end30:
	.size	_ZN2at6native32tensor_kernel_scan_innermost_dimIiSt4plusIiEEEvPT_PKS4_jjjS4_T0_, .Lfunc_end30-_ZN2at6native32tensor_kernel_scan_innermost_dimIiSt4plusIiEEEvPT_PKS4_jjjS4_T0_
                                        ; -- End function
	.set _ZN2at6native32tensor_kernel_scan_innermost_dimIiSt4plusIiEEEvPT_PKS4_jjjS4_T0_.num_vgpr, 24
	.set _ZN2at6native32tensor_kernel_scan_innermost_dimIiSt4plusIiEEEvPT_PKS4_jjjS4_T0_.num_agpr, 0
	.set _ZN2at6native32tensor_kernel_scan_innermost_dimIiSt4plusIiEEEvPT_PKS4_jjjS4_T0_.numbered_sgpr, 34
	.set _ZN2at6native32tensor_kernel_scan_innermost_dimIiSt4plusIiEEEvPT_PKS4_jjjS4_T0_.num_named_barrier, 0
	.set _ZN2at6native32tensor_kernel_scan_innermost_dimIiSt4plusIiEEEvPT_PKS4_jjjS4_T0_.private_seg_size, 0
	.set _ZN2at6native32tensor_kernel_scan_innermost_dimIiSt4plusIiEEEvPT_PKS4_jjjS4_T0_.uses_vcc, 1
	.set _ZN2at6native32tensor_kernel_scan_innermost_dimIiSt4plusIiEEEvPT_PKS4_jjjS4_T0_.uses_flat_scratch, 0
	.set _ZN2at6native32tensor_kernel_scan_innermost_dimIiSt4plusIiEEEvPT_PKS4_jjjS4_T0_.has_dyn_sized_stack, 0
	.set _ZN2at6native32tensor_kernel_scan_innermost_dimIiSt4plusIiEEEvPT_PKS4_jjjS4_T0_.has_recursion, 0
	.set _ZN2at6native32tensor_kernel_scan_innermost_dimIiSt4plusIiEEEvPT_PKS4_jjjS4_T0_.has_indirect_call, 0
	.section	.AMDGPU.csdata,"",@progbits
; Kernel info:
; codeLenInByte = 1624
; TotalNumSgprs: 40
; NumVgprs: 24
; NumAgprs: 0
; TotalNumVgprs: 24
; ScratchSize: 0
; MemoryBound: 0
; FloatMode: 240
; IeeeMode: 1
; LDSByteSize: 0 bytes/workgroup (compile time only)
; SGPRBlocks: 4
; VGPRBlocks: 2
; NumSGPRsForWavesPerEU: 40
; NumVGPRsForWavesPerEU: 24
; AccumOffset: 24
; Occupancy: 8
; WaveLimiterHint : 0
; COMPUTE_PGM_RSRC2:SCRATCH_EN: 0
; COMPUTE_PGM_RSRC2:USER_SGPR: 2
; COMPUTE_PGM_RSRC2:TRAP_HANDLER: 0
; COMPUTE_PGM_RSRC2:TGID_X_EN: 1
; COMPUTE_PGM_RSRC2:TGID_Y_EN: 0
; COMPUTE_PGM_RSRC2:TGID_Z_EN: 0
; COMPUTE_PGM_RSRC2:TIDIG_COMP_CNT: 1
; COMPUTE_PGM_RSRC3_GFX90A:ACCUM_OFFSET: 5
; COMPUTE_PGM_RSRC3_GFX90A:TG_SPLIT: 0
	.section	.text._ZN2at6native28tensor_kernel_scan_outer_dimIijSt4plusIiEEEvPT_PKS4_jjjS4_T1_,"axG",@progbits,_ZN2at6native28tensor_kernel_scan_outer_dimIijSt4plusIiEEEvPT_PKS4_jjjS4_T1_,comdat
	.protected	_ZN2at6native28tensor_kernel_scan_outer_dimIijSt4plusIiEEEvPT_PKS4_jjjS4_T1_ ; -- Begin function _ZN2at6native28tensor_kernel_scan_outer_dimIijSt4plusIiEEEvPT_PKS4_jjjS4_T1_
	.globl	_ZN2at6native28tensor_kernel_scan_outer_dimIijSt4plusIiEEEvPT_PKS4_jjjS4_T1_
	.p2align	8
	.type	_ZN2at6native28tensor_kernel_scan_outer_dimIijSt4plusIiEEEvPT_PKS4_jjjS4_T1_,@function
_ZN2at6native28tensor_kernel_scan_outer_dimIijSt4plusIiEEEvPT_PKS4_jjjS4_T1_: ; @_ZN2at6native28tensor_kernel_scan_outer_dimIijSt4plusIiEEEvPT_PKS4_jjjS4_T1_
; %bb.0:
	s_load_dwordx4 s[8:11], s[0:1], 0x10
	s_waitcnt lgkmcnt(0)
	s_cmp_ge_u32 s2, s8
	s_cbranch_scc1 .LBB31_9
; %bb.1:
	s_load_dword s4, s[0:1], 0x34
	s_load_dwordx4 s[12:15], s[0:1], 0x0
	s_load_dword s26, s[0:1], 0x28
	s_add_u32 s6, s0, 40
	s_addc_u32 s7, s1, 0
	s_waitcnt lgkmcnt(0)
	s_and_b32 s27, s4, 0xffff
	s_mul_i32 s3, s3, s27
	s_cmp_lg_u32 s10, 0
	v_add_u32_e32 v4, s3, v0
	s_cselect_b64 s[4:5], -1, 0
	s_mul_i32 s3, s2, s10
	s_mov_b32 s17, 0
	s_mov_b32 s16, s9
	s_mul_i32 s20, s3, s9
	s_mul_i32 s3, s26, s10
	v_cndmask_b32_e64 v0, 0, 1, s[4:5]
	v_cmp_gt_u32_e64 s[0:1], s9, v4
	s_mul_i32 s3, s3, s9
	s_lshl_b64 s[18:19], s[16:17], 2
	v_cmp_ne_u32_e64 s[4:5], 1, v0
	v_mov_b32_e32 v1, 0
	s_mov_b32 s16, s20
	s_branch .LBB31_3
.LBB31_2:                               ;   in Loop: Header=BB31_3 Depth=1
	s_or_b64 exec, exec, s[20:21]
	s_add_i32 s2, s26, s2
	s_add_i32 s16, s16, s3
	s_cmp_ge_u32 s2, s8
	s_cbranch_scc1 .LBB31_9
.LBB31_3:                               ; =>This Loop Header: Depth=1
                                        ;     Child Loop BB31_6 Depth 2
                                        ;       Child Loop BB31_8 Depth 3
	s_and_saveexec_b64 s[20:21], s[0:1]
	s_cbranch_execz .LBB31_2
; %bb.4:                                ;   in Loop: Header=BB31_3 Depth=1
	s_load_dword s28, s[6:7], 0x4
	s_lshl_b64 s[22:23], s[16:17], 2
	s_mov_b64 s[24:25], 0
	v_mov_b32_e32 v0, v4
	s_waitcnt lgkmcnt(0)
	s_mul_i32 s28, s28, s27
	s_branch .LBB31_6
.LBB31_5:                               ;   in Loop: Header=BB31_6 Depth=2
	v_add_u32_e32 v0, s28, v0
	v_cmp_le_u32_e32 vcc, s9, v0
	s_or_b64 s[24:25], vcc, s[24:25]
	s_andn2_b64 exec, exec, s[24:25]
	s_cbranch_execz .LBB31_2
.LBB31_6:                               ;   Parent Loop BB31_3 Depth=1
                                        ; =>  This Loop Header: Depth=2
                                        ;       Child Loop BB31_8 Depth 3
	s_and_b64 vcc, exec, s[4:5]
	s_cbranch_vccnz .LBB31_5
; %bb.7:                                ;   in Loop: Header=BB31_6 Depth=2
	v_lshl_add_u64 v[2:3], v[0:1], 2, s[22:23]
	v_mov_b32_e32 v5, s11
	s_mov_b32 s29, s10
.LBB31_8:                               ;   Parent Loop BB31_3 Depth=1
                                        ;     Parent Loop BB31_6 Depth=2
                                        ; =>    This Inner Loop Header: Depth=3
	v_lshl_add_u64 v[6:7], s[14:15], 0, v[2:3]
	global_load_dword v8, v[6:7], off
	s_add_i32 s29, s29, -1
	v_lshl_add_u64 v[6:7], s[12:13], 0, v[2:3]
	v_lshl_add_u64 v[2:3], v[2:3], 0, s[18:19]
	s_cmp_eq_u32 s29, 0
	s_waitcnt vmcnt(0)
	v_add_u32_e32 v5, v8, v5
	global_store_dword v[6:7], v5, off
	s_cbranch_scc0 .LBB31_8
	s_branch .LBB31_5
.LBB31_9:
	s_endpgm
	.section	.rodata,"a",@progbits
	.p2align	6, 0x0
	.amdhsa_kernel _ZN2at6native28tensor_kernel_scan_outer_dimIijSt4plusIiEEEvPT_PKS4_jjjS4_T1_
		.amdhsa_group_segment_fixed_size 0
		.amdhsa_private_segment_fixed_size 0
		.amdhsa_kernarg_size 296
		.amdhsa_user_sgpr_count 2
		.amdhsa_user_sgpr_dispatch_ptr 0
		.amdhsa_user_sgpr_queue_ptr 0
		.amdhsa_user_sgpr_kernarg_segment_ptr 1
		.amdhsa_user_sgpr_dispatch_id 0
		.amdhsa_user_sgpr_kernarg_preload_length 0
		.amdhsa_user_sgpr_kernarg_preload_offset 0
		.amdhsa_user_sgpr_private_segment_size 0
		.amdhsa_uses_dynamic_stack 0
		.amdhsa_enable_private_segment 0
		.amdhsa_system_sgpr_workgroup_id_x 1
		.amdhsa_system_sgpr_workgroup_id_y 1
		.amdhsa_system_sgpr_workgroup_id_z 0
		.amdhsa_system_sgpr_workgroup_info 0
		.amdhsa_system_vgpr_workitem_id 0
		.amdhsa_next_free_vgpr 9
		.amdhsa_next_free_sgpr 30
		.amdhsa_accum_offset 12
		.amdhsa_reserve_vcc 1
		.amdhsa_float_round_mode_32 0
		.amdhsa_float_round_mode_16_64 0
		.amdhsa_float_denorm_mode_32 3
		.amdhsa_float_denorm_mode_16_64 3
		.amdhsa_dx10_clamp 1
		.amdhsa_ieee_mode 1
		.amdhsa_fp16_overflow 0
		.amdhsa_tg_split 0
		.amdhsa_exception_fp_ieee_invalid_op 0
		.amdhsa_exception_fp_denorm_src 0
		.amdhsa_exception_fp_ieee_div_zero 0
		.amdhsa_exception_fp_ieee_overflow 0
		.amdhsa_exception_fp_ieee_underflow 0
		.amdhsa_exception_fp_ieee_inexact 0
		.amdhsa_exception_int_div_zero 0
	.end_amdhsa_kernel
	.section	.text._ZN2at6native28tensor_kernel_scan_outer_dimIijSt4plusIiEEEvPT_PKS4_jjjS4_T1_,"axG",@progbits,_ZN2at6native28tensor_kernel_scan_outer_dimIijSt4plusIiEEEvPT_PKS4_jjjS4_T1_,comdat
.Lfunc_end31:
	.size	_ZN2at6native28tensor_kernel_scan_outer_dimIijSt4plusIiEEEvPT_PKS4_jjjS4_T1_, .Lfunc_end31-_ZN2at6native28tensor_kernel_scan_outer_dimIijSt4plusIiEEEvPT_PKS4_jjjS4_T1_
                                        ; -- End function
	.set _ZN2at6native28tensor_kernel_scan_outer_dimIijSt4plusIiEEEvPT_PKS4_jjjS4_T1_.num_vgpr, 9
	.set _ZN2at6native28tensor_kernel_scan_outer_dimIijSt4plusIiEEEvPT_PKS4_jjjS4_T1_.num_agpr, 0
	.set _ZN2at6native28tensor_kernel_scan_outer_dimIijSt4plusIiEEEvPT_PKS4_jjjS4_T1_.numbered_sgpr, 30
	.set _ZN2at6native28tensor_kernel_scan_outer_dimIijSt4plusIiEEEvPT_PKS4_jjjS4_T1_.num_named_barrier, 0
	.set _ZN2at6native28tensor_kernel_scan_outer_dimIijSt4plusIiEEEvPT_PKS4_jjjS4_T1_.private_seg_size, 0
	.set _ZN2at6native28tensor_kernel_scan_outer_dimIijSt4plusIiEEEvPT_PKS4_jjjS4_T1_.uses_vcc, 1
	.set _ZN2at6native28tensor_kernel_scan_outer_dimIijSt4plusIiEEEvPT_PKS4_jjjS4_T1_.uses_flat_scratch, 0
	.set _ZN2at6native28tensor_kernel_scan_outer_dimIijSt4plusIiEEEvPT_PKS4_jjjS4_T1_.has_dyn_sized_stack, 0
	.set _ZN2at6native28tensor_kernel_scan_outer_dimIijSt4plusIiEEEvPT_PKS4_jjjS4_T1_.has_recursion, 0
	.set _ZN2at6native28tensor_kernel_scan_outer_dimIijSt4plusIiEEEvPT_PKS4_jjjS4_T1_.has_indirect_call, 0
	.section	.AMDGPU.csdata,"",@progbits
; Kernel info:
; codeLenInByte = 316
; TotalNumSgprs: 36
; NumVgprs: 9
; NumAgprs: 0
; TotalNumVgprs: 9
; ScratchSize: 0
; MemoryBound: 0
; FloatMode: 240
; IeeeMode: 1
; LDSByteSize: 0 bytes/workgroup (compile time only)
; SGPRBlocks: 4
; VGPRBlocks: 1
; NumSGPRsForWavesPerEU: 36
; NumVGPRsForWavesPerEU: 9
; AccumOffset: 12
; Occupancy: 8
; WaveLimiterHint : 0
; COMPUTE_PGM_RSRC2:SCRATCH_EN: 0
; COMPUTE_PGM_RSRC2:USER_SGPR: 2
; COMPUTE_PGM_RSRC2:TRAP_HANDLER: 0
; COMPUTE_PGM_RSRC2:TGID_X_EN: 1
; COMPUTE_PGM_RSRC2:TGID_Y_EN: 1
; COMPUTE_PGM_RSRC2:TGID_Z_EN: 0
; COMPUTE_PGM_RSRC2:TIDIG_COMP_CNT: 0
; COMPUTE_PGM_RSRC3_GFX90A:ACCUM_OFFSET: 2
; COMPUTE_PGM_RSRC3_GFX90A:TG_SPLIT: 0
	.section	.text._ZN2at6native28tensor_kernel_scan_outer_dimIimSt4plusIiEEEvPT_PKS4_jjjS4_T1_,"axG",@progbits,_ZN2at6native28tensor_kernel_scan_outer_dimIimSt4plusIiEEEvPT_PKS4_jjjS4_T1_,comdat
	.protected	_ZN2at6native28tensor_kernel_scan_outer_dimIimSt4plusIiEEEvPT_PKS4_jjjS4_T1_ ; -- Begin function _ZN2at6native28tensor_kernel_scan_outer_dimIimSt4plusIiEEEvPT_PKS4_jjjS4_T1_
	.globl	_ZN2at6native28tensor_kernel_scan_outer_dimIimSt4plusIiEEEvPT_PKS4_jjjS4_T1_
	.p2align	8
	.type	_ZN2at6native28tensor_kernel_scan_outer_dimIimSt4plusIiEEEvPT_PKS4_jjjS4_T1_,@function
_ZN2at6native28tensor_kernel_scan_outer_dimIimSt4plusIiEEEvPT_PKS4_jjjS4_T1_: ; @_ZN2at6native28tensor_kernel_scan_outer_dimIimSt4plusIiEEEvPT_PKS4_jjjS4_T1_
; %bb.0:
	s_load_dwordx4 s[8:11], s[0:1], 0x10
	s_waitcnt lgkmcnt(0)
	s_cmp_ge_u32 s2, s8
	s_cbranch_scc1 .LBB32_9
; %bb.1:
	s_load_dword s4, s[0:1], 0x34
	s_load_dwordx4 s[12:15], s[0:1], 0x0
	s_load_dword s26, s[0:1], 0x28
	s_add_u32 s6, s0, 40
	s_addc_u32 s7, s1, 0
	s_waitcnt lgkmcnt(0)
	s_and_b32 s27, s4, 0xffff
	s_cmp_lg_u32 s10, 0
	s_mul_i32 s3, s3, s27
	s_cselect_b64 s[20:21], -1, 0
	v_add_u32_e32 v4, s3, v0
	s_mov_b32 s5, 0
	s_mov_b32 s4, s9
	s_mul_hi_u32 s17, s10, s9
	s_mul_i32 s16, s10, s9
	v_cndmask_b32_e64 v0, 0, 1, s[20:21]
	v_cmp_gt_u32_e64 s[0:1], s9, v4
	s_lshl_b64 s[16:17], s[16:17], 2
	s_lshl_b64 s[18:19], s[4:5], 2
	v_cmp_ne_u32_e64 s[4:5], 1, v0
	v_mov_b32_e32 v1, 0
	s_branch .LBB32_3
.LBB32_2:                               ;   in Loop: Header=BB32_3 Depth=1
	s_or_b64 exec, exec, s[20:21]
	s_add_i32 s2, s2, s26
	s_cmp_ge_u32 s2, s8
	s_cbranch_scc1 .LBB32_9
.LBB32_3:                               ; =>This Loop Header: Depth=1
                                        ;     Child Loop BB32_6 Depth 2
                                        ;       Child Loop BB32_8 Depth 3
	s_and_saveexec_b64 s[20:21], s[0:1]
	s_cbranch_execz .LBB32_2
; %bb.4:                                ;   in Loop: Header=BB32_3 Depth=1
	s_load_dword s3, s[6:7], 0x4
	s_mul_i32 s23, s17, s2
	s_mul_hi_u32 s24, s16, s2
	s_mul_i32 s22, s16, s2
	s_add_i32 s23, s24, s23
	s_waitcnt lgkmcnt(0)
	s_mul_i32 s3, s3, s27
	s_mov_b64 s[24:25], 0
	v_mov_b32_e32 v0, v4
	s_branch .LBB32_6
.LBB32_5:                               ;   in Loop: Header=BB32_6 Depth=2
	v_add_u32_e32 v0, s3, v0
	v_cmp_le_u32_e32 vcc, s9, v0
	s_or_b64 s[24:25], vcc, s[24:25]
	s_andn2_b64 exec, exec, s[24:25]
	s_cbranch_execz .LBB32_2
.LBB32_6:                               ;   Parent Loop BB32_3 Depth=1
                                        ; =>  This Loop Header: Depth=2
                                        ;       Child Loop BB32_8 Depth 3
	s_and_b64 vcc, exec, s[4:5]
	s_cbranch_vccnz .LBB32_5
; %bb.7:                                ;   in Loop: Header=BB32_6 Depth=2
	v_lshl_add_u64 v[2:3], v[0:1], 2, s[22:23]
	v_mov_b32_e32 v5, s11
	s_mov_b32 s28, s10
.LBB32_8:                               ;   Parent Loop BB32_3 Depth=1
                                        ;     Parent Loop BB32_6 Depth=2
                                        ; =>    This Inner Loop Header: Depth=3
	v_lshl_add_u64 v[6:7], s[14:15], 0, v[2:3]
	global_load_dword v8, v[6:7], off
	s_add_i32 s28, s28, -1
	v_lshl_add_u64 v[6:7], s[12:13], 0, v[2:3]
	v_lshl_add_u64 v[2:3], v[2:3], 0, s[18:19]
	s_cmp_eq_u32 s28, 0
	s_waitcnt vmcnt(0)
	v_add_u32_e32 v5, v8, v5
	global_store_dword v[6:7], v5, off
	s_cbranch_scc0 .LBB32_8
	s_branch .LBB32_5
.LBB32_9:
	s_endpgm
	.section	.rodata,"a",@progbits
	.p2align	6, 0x0
	.amdhsa_kernel _ZN2at6native28tensor_kernel_scan_outer_dimIimSt4plusIiEEEvPT_PKS4_jjjS4_T1_
		.amdhsa_group_segment_fixed_size 0
		.amdhsa_private_segment_fixed_size 0
		.amdhsa_kernarg_size 296
		.amdhsa_user_sgpr_count 2
		.amdhsa_user_sgpr_dispatch_ptr 0
		.amdhsa_user_sgpr_queue_ptr 0
		.amdhsa_user_sgpr_kernarg_segment_ptr 1
		.amdhsa_user_sgpr_dispatch_id 0
		.amdhsa_user_sgpr_kernarg_preload_length 0
		.amdhsa_user_sgpr_kernarg_preload_offset 0
		.amdhsa_user_sgpr_private_segment_size 0
		.amdhsa_uses_dynamic_stack 0
		.amdhsa_enable_private_segment 0
		.amdhsa_system_sgpr_workgroup_id_x 1
		.amdhsa_system_sgpr_workgroup_id_y 1
		.amdhsa_system_sgpr_workgroup_id_z 0
		.amdhsa_system_sgpr_workgroup_info 0
		.amdhsa_system_vgpr_workitem_id 0
		.amdhsa_next_free_vgpr 9
		.amdhsa_next_free_sgpr 29
		.amdhsa_accum_offset 12
		.amdhsa_reserve_vcc 1
		.amdhsa_float_round_mode_32 0
		.amdhsa_float_round_mode_16_64 0
		.amdhsa_float_denorm_mode_32 3
		.amdhsa_float_denorm_mode_16_64 3
		.amdhsa_dx10_clamp 1
		.amdhsa_ieee_mode 1
		.amdhsa_fp16_overflow 0
		.amdhsa_tg_split 0
		.amdhsa_exception_fp_ieee_invalid_op 0
		.amdhsa_exception_fp_denorm_src 0
		.amdhsa_exception_fp_ieee_div_zero 0
		.amdhsa_exception_fp_ieee_overflow 0
		.amdhsa_exception_fp_ieee_underflow 0
		.amdhsa_exception_fp_ieee_inexact 0
		.amdhsa_exception_int_div_zero 0
	.end_amdhsa_kernel
	.section	.text._ZN2at6native28tensor_kernel_scan_outer_dimIimSt4plusIiEEEvPT_PKS4_jjjS4_T1_,"axG",@progbits,_ZN2at6native28tensor_kernel_scan_outer_dimIimSt4plusIiEEEvPT_PKS4_jjjS4_T1_,comdat
.Lfunc_end32:
	.size	_ZN2at6native28tensor_kernel_scan_outer_dimIimSt4plusIiEEEvPT_PKS4_jjjS4_T1_, .Lfunc_end32-_ZN2at6native28tensor_kernel_scan_outer_dimIimSt4plusIiEEEvPT_PKS4_jjjS4_T1_
                                        ; -- End function
	.set _ZN2at6native28tensor_kernel_scan_outer_dimIimSt4plusIiEEEvPT_PKS4_jjjS4_T1_.num_vgpr, 9
	.set _ZN2at6native28tensor_kernel_scan_outer_dimIimSt4plusIiEEEvPT_PKS4_jjjS4_T1_.num_agpr, 0
	.set _ZN2at6native28tensor_kernel_scan_outer_dimIimSt4plusIiEEEvPT_PKS4_jjjS4_T1_.numbered_sgpr, 29
	.set _ZN2at6native28tensor_kernel_scan_outer_dimIimSt4plusIiEEEvPT_PKS4_jjjS4_T1_.num_named_barrier, 0
	.set _ZN2at6native28tensor_kernel_scan_outer_dimIimSt4plusIiEEEvPT_PKS4_jjjS4_T1_.private_seg_size, 0
	.set _ZN2at6native28tensor_kernel_scan_outer_dimIimSt4plusIiEEEvPT_PKS4_jjjS4_T1_.uses_vcc, 1
	.set _ZN2at6native28tensor_kernel_scan_outer_dimIimSt4plusIiEEEvPT_PKS4_jjjS4_T1_.uses_flat_scratch, 0
	.set _ZN2at6native28tensor_kernel_scan_outer_dimIimSt4plusIiEEEvPT_PKS4_jjjS4_T1_.has_dyn_sized_stack, 0
	.set _ZN2at6native28tensor_kernel_scan_outer_dimIimSt4plusIiEEEvPT_PKS4_jjjS4_T1_.has_recursion, 0
	.set _ZN2at6native28tensor_kernel_scan_outer_dimIimSt4plusIiEEEvPT_PKS4_jjjS4_T1_.has_indirect_call, 0
	.section	.AMDGPU.csdata,"",@progbits
; Kernel info:
; codeLenInByte = 316
; TotalNumSgprs: 35
; NumVgprs: 9
; NumAgprs: 0
; TotalNumVgprs: 9
; ScratchSize: 0
; MemoryBound: 0
; FloatMode: 240
; IeeeMode: 1
; LDSByteSize: 0 bytes/workgroup (compile time only)
; SGPRBlocks: 4
; VGPRBlocks: 1
; NumSGPRsForWavesPerEU: 35
; NumVGPRsForWavesPerEU: 9
; AccumOffset: 12
; Occupancy: 8
; WaveLimiterHint : 0
; COMPUTE_PGM_RSRC2:SCRATCH_EN: 0
; COMPUTE_PGM_RSRC2:USER_SGPR: 2
; COMPUTE_PGM_RSRC2:TRAP_HANDLER: 0
; COMPUTE_PGM_RSRC2:TGID_X_EN: 1
; COMPUTE_PGM_RSRC2:TGID_Y_EN: 1
; COMPUTE_PGM_RSRC2:TGID_Z_EN: 0
; COMPUTE_PGM_RSRC2:TIDIG_COMP_CNT: 0
; COMPUTE_PGM_RSRC3_GFX90A:ACCUM_OFFSET: 2
; COMPUTE_PGM_RSRC3_GFX90A:TG_SPLIT: 0
	.section	.text._ZN2at4cuda3cub15calc_block_sumsILi256ELi16ELb0EllEEvPKT2_PT3_li,"axG",@progbits,_ZN2at4cuda3cub15calc_block_sumsILi256ELi16ELb0EllEEvPKT2_PT3_li,comdat
	.protected	_ZN2at4cuda3cub15calc_block_sumsILi256ELi16ELb0EllEEvPKT2_PT3_li ; -- Begin function _ZN2at4cuda3cub15calc_block_sumsILi256ELi16ELb0EllEEvPKT2_PT3_li
	.globl	_ZN2at4cuda3cub15calc_block_sumsILi256ELi16ELb0EllEEvPKT2_PT3_li
	.p2align	8
	.type	_ZN2at4cuda3cub15calc_block_sumsILi256ELi16ELb0EllEEvPKT2_PT3_li,@function
_ZN2at4cuda3cub15calc_block_sumsILi256ELi16ELb0EllEEvPKT2_PT3_li: ; @_ZN2at4cuda3cub15calc_block_sumsILi256ELi16ELb0EllEEvPKT2_PT3_li
; %bb.0:
	s_load_dword s14, s[0:1], 0x18
	s_load_dwordx2 s[4:5], s[0:1], 0x10
	s_waitcnt lgkmcnt(0)
	s_lshl_b32 s3, s14, 12
	s_ashr_i32 s6, s3, 31
	s_mul_hi_u32 s7, s3, s2
	s_mul_i32 s6, s6, s2
	s_add_i32 s7, s7, s6
	s_mul_i32 s6, s3, s2
	s_sub_u32 s12, s4, s6
	s_subb_u32 s13, s5, s7
	v_cmp_lt_i64_e64 s[4:5], s[12:13], 1
	s_and_b64 vcc, exec, s[4:5]
	s_cbranch_vccnz .LBB33_54
; %bb.1:
	s_load_dwordx4 s[8:11], s[0:1], 0x0
	s_mov_b32 s3, 0
	s_mov_b64 s[4:5], -1
	s_cmp_gt_i32 s14, 0
	s_mov_b64 s[0:1], -1
	s_cbranch_scc1 .LBB33_3
; %bb.2:
	s_mov_b64 s[0:1], 0
.LBB33_3:
	s_andn2_b64 vcc, exec, s[0:1]
	v_mov_b64_e32 v[36:37], 0
	s_cbranch_vccnz .LBB33_52
; %bb.4:
	v_lshrrev_b32_e32 v2, 3, v0
	s_lshl_b64 s[4:5], s[6:7], 3
	v_and_b32_e32 v48, 0x78, v2
	v_mov_b32_e32 v2, 0
	s_waitcnt lgkmcnt(0)
	s_add_u32 s4, s8, s4
	v_lshlrev_b32_e32 v4, 3, v0
	v_mov_b32_e32 v5, v2
	s_addc_u32 s5, s9, s5
	v_mbcnt_lo_u32_b32 v3, -1, 0
	v_add_u32_e32 v1, 0xb00, v0
	v_or_b32_e32 v44, 0xc00, v0
	v_add_u32_e32 v45, 0xd00, v0
	v_add_u32_e32 v46, 0xe00, v0
	v_add_u32_e32 v47, 0xf00, v0
	v_cmp_gt_u32_e64 s[0:1], 64, v0
	v_lshl_add_u64 v[42:43], s[4:5], 0, v[4:5]
	v_mov_b64_e32 v[36:37], 0
	v_mov_b64_e32 v[38:39], 0x1000
	s_mov_b64 s[8:9], 0x8000
	v_mbcnt_hi_u32_b32 v49, -1, v3
	v_mov_b64_e32 v[40:41], 0x1001
	s_branch .LBB33_6
.LBB33_5:                               ;   in Loop: Header=BB33_6 Depth=1
	s_add_u32 s12, s12, 0xfffff000
	s_addc_u32 s13, s13, -1
	s_add_i32 s14, s14, -1
	s_cmp_eq_u32 s14, 0
	v_lshl_add_u64 v[42:43], v[42:43], 0, s[8:9]
	s_mov_b64 s[4:5], -1
	s_cselect_b64 s[6:7], -1, 0
	s_barrier
	s_andn2_b64 vcc, exec, s[6:7]
	v_lshl_add_u64 v[36:37], v[4:5], 0, v[36:37]
	s_cbranch_vccz .LBB33_52
.LBB33_6:                               ; =>This Inner Loop Header: Depth=1
	v_cmp_lt_i64_e32 vcc, s[12:13], v[38:39]
	s_mov_b64 s[4:5], -1
                                        ; implicit-def: $vgpr4_vgpr5
	s_cbranch_vccnz .LBB33_9
; %bb.7:                                ;   in Loop: Header=BB33_6 Depth=1
	s_and_b64 vcc, exec, s[4:5]
	s_cbranch_vccnz .LBB33_41
.LBB33_8:                               ;   in Loop: Header=BB33_6 Depth=1
	v_cmp_lt_i64_e32 vcc, s[12:13], v[40:41]
	s_cbranch_vccz .LBB33_5
	s_branch .LBB33_46
.LBB33_9:                               ;   in Loop: Header=BB33_6 Depth=1
	v_mov_b32_e32 v4, v2
	v_mov_b32_e32 v5, v2
	;; [unrolled: 1-line block ×31, first 2 shown]
	v_mov_b64_e32 v[34:35], v[32:33]
	v_cmp_gt_u32_e32 vcc, s12, v0
	v_mov_b64_e32 v[32:33], v[30:31]
	v_mov_b64_e32 v[30:31], v[28:29]
	;; [unrolled: 1-line block ×15, first 2 shown]
	s_and_saveexec_b64 s[4:5], vcc
	s_cbranch_execz .LBB33_11
; %bb.10:                               ;   in Loop: Header=BB33_6 Depth=1
	global_load_dwordx2 v[4:5], v[42:43], off
	v_mov_b32_e32 v6, v2
	v_mov_b32_e32 v7, v2
	;; [unrolled: 1-line block ×30, first 2 shown]
.LBB33_11:                              ;   in Loop: Header=BB33_6 Depth=1
	s_or_b64 exec, exec, s[4:5]
	v_add_u32_e32 v3, 0x100, v0
	v_cmp_gt_u32_e32 vcc, s12, v3
	s_and_saveexec_b64 s[4:5], vcc
	s_cbranch_execz .LBB33_13
; %bb.12:                               ;   in Loop: Header=BB33_6 Depth=1
	global_load_dwordx2 v[6:7], v[42:43], off offset:2048
.LBB33_13:                              ;   in Loop: Header=BB33_6 Depth=1
	s_or_b64 exec, exec, s[4:5]
	v_add_u32_e32 v3, 0x200, v0
	v_cmp_gt_u32_e32 vcc, s12, v3
	s_and_saveexec_b64 s[4:5], vcc
	s_cbranch_execz .LBB33_15
; %bb.14:                               ;   in Loop: Header=BB33_6 Depth=1
	v_add_co_u32_e32 v8, vcc, 0x1000, v42
	s_nop 1
	v_addc_co_u32_e32 v9, vcc, 0, v43, vcc
	global_load_dwordx2 v[8:9], v[8:9], off
.LBB33_15:                              ;   in Loop: Header=BB33_6 Depth=1
	s_or_b64 exec, exec, s[4:5]
	v_add_u32_e32 v3, 0x300, v0
	v_cmp_gt_u32_e32 vcc, s12, v3
	s_and_saveexec_b64 s[4:5], vcc
	s_cbranch_execz .LBB33_17
; %bb.16:                               ;   in Loop: Header=BB33_6 Depth=1
	v_add_co_u32_e32 v10, vcc, 0x1000, v42
	s_nop 1
	v_addc_co_u32_e32 v11, vcc, 0, v43, vcc
	global_load_dwordx2 v[10:11], v[10:11], off offset:2048
.LBB33_17:                              ;   in Loop: Header=BB33_6 Depth=1
	s_or_b64 exec, exec, s[4:5]
	v_or_b32_e32 v3, 0x400, v0
	v_cmp_gt_u32_e32 vcc, s12, v3
	s_and_saveexec_b64 s[4:5], vcc
	s_cbranch_execz .LBB33_19
; %bb.18:                               ;   in Loop: Header=BB33_6 Depth=1
	v_add_co_u32_e32 v12, vcc, 0x2000, v42
	s_nop 1
	v_addc_co_u32_e32 v13, vcc, 0, v43, vcc
	global_load_dwordx2 v[12:13], v[12:13], off
.LBB33_19:                              ;   in Loop: Header=BB33_6 Depth=1
	s_or_b64 exec, exec, s[4:5]
	v_add_u32_e32 v3, 0x500, v0
	v_cmp_gt_u32_e32 vcc, s12, v3
	s_and_saveexec_b64 s[4:5], vcc
	s_cbranch_execz .LBB33_21
; %bb.20:                               ;   in Loop: Header=BB33_6 Depth=1
	v_add_co_u32_e32 v14, vcc, 0x2000, v42
	s_nop 1
	v_addc_co_u32_e32 v15, vcc, 0, v43, vcc
	global_load_dwordx2 v[14:15], v[14:15], off offset:2048
.LBB33_21:                              ;   in Loop: Header=BB33_6 Depth=1
	s_or_b64 exec, exec, s[4:5]
	v_add_u32_e32 v3, 0x600, v0
	v_cmp_gt_u32_e32 vcc, s12, v3
	s_and_saveexec_b64 s[4:5], vcc
	s_cbranch_execz .LBB33_23
; %bb.22:                               ;   in Loop: Header=BB33_6 Depth=1
	v_add_co_u32_e32 v16, vcc, 0x3000, v42
	s_nop 1
	v_addc_co_u32_e32 v17, vcc, 0, v43, vcc
	global_load_dwordx2 v[16:17], v[16:17], off
.LBB33_23:                              ;   in Loop: Header=BB33_6 Depth=1
	s_or_b64 exec, exec, s[4:5]
	v_add_u32_e32 v3, 0x700, v0
	v_cmp_gt_u32_e32 vcc, s12, v3
	s_and_saveexec_b64 s[4:5], vcc
	s_cbranch_execz .LBB33_25
; %bb.24:                               ;   in Loop: Header=BB33_6 Depth=1
	v_add_co_u32_e32 v18, vcc, 0x3000, v42
	s_nop 1
	v_addc_co_u32_e32 v19, vcc, 0, v43, vcc
	global_load_dwordx2 v[18:19], v[18:19], off offset:2048
.LBB33_25:                              ;   in Loop: Header=BB33_6 Depth=1
	s_or_b64 exec, exec, s[4:5]
	v_or_b32_e32 v3, 0x800, v0
	v_cmp_gt_u32_e32 vcc, s12, v3
	s_and_saveexec_b64 s[4:5], vcc
	s_cbranch_execz .LBB33_27
; %bb.26:                               ;   in Loop: Header=BB33_6 Depth=1
	v_add_co_u32_e32 v20, vcc, 0x4000, v42
	s_nop 1
	v_addc_co_u32_e32 v21, vcc, 0, v43, vcc
	global_load_dwordx2 v[20:21], v[20:21], off
.LBB33_27:                              ;   in Loop: Header=BB33_6 Depth=1
	s_or_b64 exec, exec, s[4:5]
	v_add_u32_e32 v3, 0x900, v0
	v_cmp_gt_u32_e32 vcc, s12, v3
	s_and_saveexec_b64 s[4:5], vcc
	s_cbranch_execz .LBB33_29
; %bb.28:                               ;   in Loop: Header=BB33_6 Depth=1
	v_add_co_u32_e32 v22, vcc, 0x4000, v42
	s_nop 1
	v_addc_co_u32_e32 v23, vcc, 0, v43, vcc
	global_load_dwordx2 v[22:23], v[22:23], off offset:2048
.LBB33_29:                              ;   in Loop: Header=BB33_6 Depth=1
	s_or_b64 exec, exec, s[4:5]
	v_add_u32_e32 v3, 0xa00, v0
	v_cmp_gt_u32_e32 vcc, s12, v3
	s_and_saveexec_b64 s[4:5], vcc
	s_cbranch_execnz .LBB33_47
; %bb.30:                               ;   in Loop: Header=BB33_6 Depth=1
	s_or_b64 exec, exec, s[4:5]
	v_cmp_gt_u32_e32 vcc, s12, v1
	s_and_saveexec_b64 s[4:5], vcc
	s_cbranch_execnz .LBB33_48
.LBB33_31:                              ;   in Loop: Header=BB33_6 Depth=1
	s_or_b64 exec, exec, s[4:5]
	v_cmp_gt_u32_e32 vcc, s12, v44
	s_and_saveexec_b64 s[4:5], vcc
	s_cbranch_execnz .LBB33_49
.LBB33_32:                              ;   in Loop: Header=BB33_6 Depth=1
	s_or_b64 exec, exec, s[4:5]
	v_cmp_gt_u32_e32 vcc, s12, v45
	s_and_saveexec_b64 s[4:5], vcc
	s_cbranch_execnz .LBB33_50
.LBB33_33:                              ;   in Loop: Header=BB33_6 Depth=1
	s_or_b64 exec, exec, s[4:5]
	v_cmp_gt_u32_e32 vcc, s12, v46
	s_and_saveexec_b64 s[4:5], vcc
	s_cbranch_execnz .LBB33_51
.LBB33_34:                              ;   in Loop: Header=BB33_6 Depth=1
	s_or_b64 exec, exec, s[4:5]
	v_cmp_gt_u32_e32 vcc, s12, v47
	s_and_saveexec_b64 s[4:5], vcc
	s_cbranch_execz .LBB33_36
.LBB33_35:                              ;   in Loop: Header=BB33_6 Depth=1
	v_add_co_u32_e32 v34, vcc, 0x7000, v42
	s_nop 1
	v_addc_co_u32_e32 v35, vcc, 0, v43, vcc
	global_load_dwordx2 v[34:35], v[34:35], off offset:2048
.LBB33_36:                              ;   in Loop: Header=BB33_6 Depth=1
	s_or_b64 exec, exec, s[4:5]
	s_waitcnt vmcnt(0)
	v_lshl_add_u64 v[4:5], v[6:7], 0, v[4:5]
	v_lshl_add_u64 v[4:5], v[4:5], 0, v[8:9]
	v_lshl_add_u64 v[4:5], v[4:5], 0, v[10:11]
	v_lshl_add_u64 v[4:5], v[4:5], 0, v[12:13]
	v_lshl_add_u64 v[4:5], v[4:5], 0, v[14:15]
	v_lshl_add_u64 v[4:5], v[4:5], 0, v[16:17]
	v_lshl_add_u64 v[4:5], v[4:5], 0, v[18:19]
	v_lshl_add_u64 v[4:5], v[4:5], 0, v[20:21]
	v_lshl_add_u64 v[4:5], v[4:5], 0, v[22:23]
	v_lshl_add_u64 v[4:5], v[4:5], 0, v[24:25]
	v_lshl_add_u64 v[4:5], v[4:5], 0, v[26:27]
	v_lshl_add_u64 v[4:5], v[4:5], 0, v[28:29]
	v_lshl_add_u64 v[4:5], v[4:5], 0, v[30:31]
	v_lshl_add_u64 v[4:5], v[4:5], 0, v[32:33]
	v_lshl_add_u64 v[4:5], v[4:5], 0, v[34:35]
	v_mov_b32_e32 v7, v2
	v_cmp_eq_u32_e32 vcc, 0, v49
	v_mov_b32_dpp v6, v4 quad_perm:[1,0,3,2] row_mask:0xf bank_mask:0xf
	v_mov_b32_dpp v3, v5 quad_perm:[1,0,3,2] row_mask:0xf bank_mask:0xf
	v_lshl_add_u64 v[4:5], v[4:5], 0, v[6:7]
	v_lshl_add_u64 v[6:7], v[4:5], 0, v[2:3]
	v_mov_b32_e32 v5, v2
	v_mov_b32_dpp v4, v4 quad_perm:[2,3,0,1] row_mask:0xf bank_mask:0xf
	v_mov_b32_dpp v3, v7 quad_perm:[2,3,0,1] row_mask:0xf bank_mask:0xf
	v_lshl_add_u64 v[4:5], v[6:7], 0, v[4:5]
	v_lshl_add_u64 v[6:7], v[4:5], 0, v[2:3]
	v_mov_b32_e32 v5, v2
	v_mov_b32_dpp v4, v4 row_ror:4 row_mask:0xf bank_mask:0xf
	v_mov_b32_dpp v3, v7 row_ror:4 row_mask:0xf bank_mask:0xf
	v_lshl_add_u64 v[4:5], v[6:7], 0, v[4:5]
	v_lshl_add_u64 v[6:7], v[4:5], 0, v[2:3]
	v_mov_b32_e32 v5, v2
	v_mov_b32_dpp v4, v4 row_ror:8 row_mask:0xf bank_mask:0xf
	v_mov_b32_dpp v3, v7 row_ror:8 row_mask:0xf bank_mask:0xf
	v_lshl_add_u64 v[4:5], v[6:7], 0, v[4:5]
	v_lshl_add_u64 v[6:7], v[4:5], 0, v[2:3]
	v_mov_b32_e32 v5, v2
	v_mov_b32_dpp v4, v4 row_bcast:15 row_mask:0xf bank_mask:0xf
	v_mov_b32_dpp v3, v7 row_bcast:15 row_mask:0xf bank_mask:0xf
	v_lshl_add_u64 v[4:5], v[6:7], 0, v[4:5]
	v_lshl_add_u64 v[6:7], v[4:5], 0, v[2:3]
	v_mov_b32_e32 v5, v2
	v_mov_b32_dpp v4, v4 row_bcast:31 row_mask:0xf bank_mask:0xf
	v_mov_b32_dpp v3, v7 row_bcast:31 row_mask:0xf bank_mask:0xf
	v_lshl_add_u64 v[4:5], v[6:7], 0, v[4:5]
	v_lshlrev_b32_e32 v6, 2, v49
	v_add_u32_e32 v3, v3, v5
	v_or_b32_e32 v5, 0xfc, v6
	ds_bpermute_b32 v4, v5, v4
	ds_bpermute_b32 v5, v5, v3
	s_waitcnt lgkmcnt(0)
	s_barrier
	s_and_saveexec_b64 s[4:5], vcc
; %bb.37:                               ;   in Loop: Header=BB33_6 Depth=1
	ds_write_b64 v48, v[4:5]
; %bb.38:                               ;   in Loop: Header=BB33_6 Depth=1
	s_or_b64 exec, exec, s[4:5]
	s_waitcnt lgkmcnt(0)
	s_barrier
	s_and_saveexec_b64 s[4:5], s[0:1]
	s_cbranch_execz .LBB33_40
; %bb.39:                               ;   in Loop: Header=BB33_6 Depth=1
	v_and_b32_e32 v3, 3, v49
	v_lshlrev_b32_e32 v4, 3, v3
	ds_read_b64 v[4:5], v4
	v_cmp_ne_u32_e32 vcc, 3, v3
	v_mov_b32_e32 v9, v2
	v_or_b32_e32 v10, 8, v6
	v_addc_co_u32_e32 v3, vcc, 0, v49, vcc
	v_lshlrev_b32_e32 v3, 2, v3
	s_waitcnt lgkmcnt(0)
	ds_bpermute_b32 v8, v3, v4
	ds_bpermute_b32 v3, v3, v5
	s_waitcnt lgkmcnt(1)
	v_lshl_add_u64 v[4:5], v[4:5], 0, v[8:9]
	s_waitcnt lgkmcnt(0)
	v_lshl_add_u64 v[6:7], v[2:3], 0, v[4:5]
	ds_bpermute_b32 v4, v10, v4
	ds_bpermute_b32 v3, v10, v7
	v_mov_b32_e32 v5, v2
	s_waitcnt lgkmcnt(1)
	v_lshl_add_u64 v[4:5], v[6:7], 0, v[4:5]
	s_waitcnt lgkmcnt(0)
	v_lshl_add_u64 v[4:5], v[4:5], 0, v[2:3]
.LBB33_40:                              ;   in Loop: Header=BB33_6 Depth=1
	s_or_b64 exec, exec, s[4:5]
	s_branch .LBB33_8
.LBB33_41:                              ;   in Loop: Header=BB33_6 Depth=1
	global_load_dwordx2 v[4:5], v[42:43], off
	global_load_dwordx2 v[6:7], v[42:43], off offset:2048
	v_add_co_u32_e32 v10, vcc, 0x1000, v42
	s_waitcnt vmcnt(0)
	v_lshl_add_u64 v[4:5], v[6:7], 0, v[4:5]
	v_addc_co_u32_e32 v11, vcc, 0, v43, vcc
	global_load_dwordx2 v[14:15], v[10:11], off
	global_load_dwordx2 v[8:9], v[10:11], off offset:2048
	v_add_co_u32_e32 v10, vcc, 0x2000, v42
	s_waitcnt vmcnt(1)
	v_lshl_add_u64 v[4:5], v[4:5], 0, v[14:15]
	v_addc_co_u32_e32 v11, vcc, 0, v43, vcc
	global_load_dwordx2 v[12:13], v[10:11], off
	v_add_co_u32_e32 v16, vcc, 0x3000, v42
	s_waitcnt vmcnt(1)
	v_lshl_add_u64 v[4:5], v[4:5], 0, v[8:9]
	v_addc_co_u32_e32 v17, vcc, 0, v43, vcc
	v_add_co_u32_e32 v18, vcc, 0x4000, v42
	s_mov_b64 s[6:7], vcc
	v_add_co_u32_e32 v20, vcc, 0x5000, v42
	s_mov_b64 s[4:5], vcc
	v_addc_co_u32_e64 v19, vcc, 0, v43, s[6:7]
	global_load_dwordx2 v[6:7], v[16:17], off
	v_add_co_u32_e32 v22, vcc, 0x6000, v42
	global_load_dwordx2 v[10:11], v[10:11], off offset:2048
	s_mov_b64 s[6:7], vcc
	v_add_co_u32_e32 v24, vcc, 0x7000, v42
	s_waitcnt vmcnt(2)
	v_lshl_add_u64 v[4:5], v[4:5], 0, v[12:13]
	v_addc_co_u32_e32 v25, vcc, 0, v43, vcc
	global_load_dwordx2 v[26:27], v[24:25], off offset:2048
	global_load_dwordx2 v[14:15], v[16:17], off offset:2048
	global_load_dwordx2 v[28:29], v[18:19], off
	global_load_dwordx2 v[30:31], v[18:19], off offset:2048
	v_addc_co_u32_e64 v21, vcc, 0, v43, s[4:5]
	global_load_dwordx2 v[8:9], v[20:21], off
	global_load_dwordx2 v[16:17], v[20:21], off offset:2048
	v_addc_co_u32_e64 v23, vcc, 0, v43, s[6:7]
	global_load_dwordx2 v[12:13], v[22:23], off
	global_load_dwordx2 v[18:19], v[22:23], off offset:2048
	global_load_dwordx2 v[20:21], v[24:25], off
	v_mov_b32_e32 v23, v2
	v_mov_b32_e32 v25, v2
	v_cmp_eq_u32_e32 vcc, 0, v49
	s_barrier
	s_waitcnt vmcnt(9)
	v_lshl_add_u64 v[4:5], v[4:5], 0, v[10:11]
	v_lshl_add_u64 v[4:5], v[4:5], 0, v[6:7]
	v_mov_b32_e32 v11, v2
	v_lshlrev_b32_e32 v6, 2, v49
	v_or_b32_e32 v7, 0xfc, v6
	s_waitcnt vmcnt(7)
	v_lshl_add_u64 v[4:5], v[4:5], 0, v[14:15]
	s_waitcnt vmcnt(6)
	v_lshl_add_u64 v[4:5], v[4:5], 0, v[28:29]
	;; [unrolled: 2-line block ×3, first 2 shown]
	v_mov_b32_e32 v15, v2
	v_mov_b32_e32 v29, v2
	s_waitcnt vmcnt(4)
	v_lshl_add_u64 v[4:5], v[4:5], 0, v[8:9]
	s_waitcnt vmcnt(3)
	v_lshl_add_u64 v[4:5], v[4:5], 0, v[16:17]
	;; [unrolled: 2-line block ×5, first 2 shown]
	v_lshl_add_u64 v[4:5], v[4:5], 0, v[26:27]
	v_mov_b32_e32 v9, v2
	s_nop 0
	v_mov_b32_dpp v10, v4 quad_perm:[1,0,3,2] row_mask:0xf bank_mask:0xf
	v_mov_b32_dpp v3, v5 quad_perm:[1,0,3,2] row_mask:0xf bank_mask:0xf
	v_lshl_add_u64 v[4:5], v[4:5], 0, v[10:11]
	v_lshl_add_u64 v[10:11], v[2:3], 0, v[4:5]
	s_nop 0
	v_mov_b32_dpp v22, v4 quad_perm:[2,3,0,1] row_mask:0xf bank_mask:0xf
	v_mov_b32_dpp v3, v11 quad_perm:[2,3,0,1] row_mask:0xf bank_mask:0xf
	v_lshl_add_u64 v[4:5], v[10:11], 0, v[22:23]
	v_lshl_add_u64 v[10:11], v[4:5], 0, v[2:3]
	s_nop 0
	v_mov_b32_dpp v14, v4 row_ror:4 row_mask:0xf bank_mask:0xf
	v_mov_b32_dpp v3, v11 row_ror:4 row_mask:0xf bank_mask:0xf
	v_lshl_add_u64 v[4:5], v[10:11], 0, v[14:15]
	v_lshl_add_u64 v[10:11], v[4:5], 0, v[2:3]
	s_nop 0
	v_mov_b32_dpp v24, v4 row_ror:8 row_mask:0xf bank_mask:0xf
	v_mov_b32_dpp v3, v11 row_ror:8 row_mask:0xf bank_mask:0xf
	v_lshl_add_u64 v[4:5], v[10:11], 0, v[24:25]
	v_lshl_add_u64 v[10:11], v[4:5], 0, v[2:3]
	s_nop 0
	v_mov_b32_dpp v28, v4 row_bcast:15 row_mask:0xf bank_mask:0xf
	v_mov_b32_dpp v3, v11 row_bcast:15 row_mask:0xf bank_mask:0xf
	v_lshl_add_u64 v[4:5], v[10:11], 0, v[28:29]
	v_lshl_add_u64 v[10:11], v[4:5], 0, v[2:3]
	s_nop 0
	v_mov_b32_dpp v8, v4 row_bcast:31 row_mask:0xf bank_mask:0xf
	v_mov_b32_dpp v3, v11 row_bcast:31 row_mask:0xf bank_mask:0xf
	v_lshl_add_u64 v[4:5], v[10:11], 0, v[8:9]
	v_add_u32_e32 v3, v3, v5
	ds_bpermute_b32 v4, v7, v4
	ds_bpermute_b32 v5, v7, v3
	s_and_saveexec_b64 s[4:5], vcc
	s_cbranch_execz .LBB33_43
; %bb.42:                               ;   in Loop: Header=BB33_6 Depth=1
	s_waitcnt lgkmcnt(0)
	ds_write_b64 v48, v[4:5]
.LBB33_43:                              ;   in Loop: Header=BB33_6 Depth=1
	s_or_b64 exec, exec, s[4:5]
	s_waitcnt lgkmcnt(0)
	s_barrier
	s_and_saveexec_b64 s[4:5], s[0:1]
	s_cbranch_execz .LBB33_45
; %bb.44:                               ;   in Loop: Header=BB33_6 Depth=1
	v_and_b32_e32 v3, 3, v49
	v_lshlrev_b32_e32 v4, 3, v3
	ds_read_b64 v[4:5], v4
	v_cmp_ne_u32_e32 vcc, 3, v3
	v_mov_b32_e32 v9, v2
	v_or_b32_e32 v10, 8, v6
	v_addc_co_u32_e32 v3, vcc, 0, v49, vcc
	v_lshlrev_b32_e32 v3, 2, v3
	s_waitcnt lgkmcnt(0)
	ds_bpermute_b32 v8, v3, v4
	ds_bpermute_b32 v3, v3, v5
	s_waitcnt lgkmcnt(1)
	v_lshl_add_u64 v[4:5], v[4:5], 0, v[8:9]
	s_waitcnt lgkmcnt(0)
	v_lshl_add_u64 v[6:7], v[2:3], 0, v[4:5]
	ds_bpermute_b32 v4, v10, v4
	ds_bpermute_b32 v3, v10, v7
	v_mov_b32_e32 v5, v2
	s_waitcnt lgkmcnt(1)
	v_lshl_add_u64 v[4:5], v[6:7], 0, v[4:5]
	s_waitcnt lgkmcnt(0)
	v_lshl_add_u64 v[4:5], v[4:5], 0, v[2:3]
.LBB33_45:                              ;   in Loop: Header=BB33_6 Depth=1
	s_or_b64 exec, exec, s[4:5]
	v_cmp_lt_i64_e32 vcc, s[12:13], v[40:41]
	s_cbranch_vccz .LBB33_5
.LBB33_46:
	s_mov_b64 s[4:5], 0
                                        ; implicit-def: $sgpr12_sgpr13
                                        ; implicit-def: $sgpr14
                                        ; implicit-def: $vgpr42_vgpr43
	v_lshl_add_u64 v[36:37], v[4:5], 0, v[36:37]
	s_branch .LBB33_52
.LBB33_47:                              ;   in Loop: Header=BB33_6 Depth=1
	v_add_co_u32_e32 v24, vcc, 0x5000, v42
	s_nop 1
	v_addc_co_u32_e32 v25, vcc, 0, v43, vcc
	global_load_dwordx2 v[24:25], v[24:25], off
	s_or_b64 exec, exec, s[4:5]
	v_cmp_gt_u32_e32 vcc, s12, v1
	s_and_saveexec_b64 s[4:5], vcc
	s_cbranch_execz .LBB33_31
.LBB33_48:                              ;   in Loop: Header=BB33_6 Depth=1
	v_add_co_u32_e32 v26, vcc, 0x5000, v42
	s_nop 1
	v_addc_co_u32_e32 v27, vcc, 0, v43, vcc
	global_load_dwordx2 v[26:27], v[26:27], off offset:2048
	s_or_b64 exec, exec, s[4:5]
	v_cmp_gt_u32_e32 vcc, s12, v44
	s_and_saveexec_b64 s[4:5], vcc
	s_cbranch_execz .LBB33_32
.LBB33_49:                              ;   in Loop: Header=BB33_6 Depth=1
	v_add_co_u32_e32 v28, vcc, 0x6000, v42
	s_nop 1
	v_addc_co_u32_e32 v29, vcc, 0, v43, vcc
	global_load_dwordx2 v[28:29], v[28:29], off
	s_or_b64 exec, exec, s[4:5]
	v_cmp_gt_u32_e32 vcc, s12, v45
	s_and_saveexec_b64 s[4:5], vcc
	s_cbranch_execz .LBB33_33
.LBB33_50:                              ;   in Loop: Header=BB33_6 Depth=1
	v_add_co_u32_e32 v30, vcc, 0x6000, v42
	s_nop 1
	v_addc_co_u32_e32 v31, vcc, 0, v43, vcc
	global_load_dwordx2 v[30:31], v[30:31], off offset:2048
	s_or_b64 exec, exec, s[4:5]
	v_cmp_gt_u32_e32 vcc, s12, v46
	s_and_saveexec_b64 s[4:5], vcc
	s_cbranch_execz .LBB33_34
.LBB33_51:                              ;   in Loop: Header=BB33_6 Depth=1
	v_add_co_u32_e32 v32, vcc, 0x7000, v42
	s_nop 1
	v_addc_co_u32_e32 v33, vcc, 0, v43, vcc
	global_load_dwordx2 v[32:33], v[32:33], off
	s_or_b64 exec, exec, s[4:5]
	v_cmp_gt_u32_e32 vcc, s12, v47
	s_and_saveexec_b64 s[4:5], vcc
	s_cbranch_execnz .LBB33_35
	s_branch .LBB33_36
.LBB33_52:
	v_cmp_eq_u32_e32 vcc, 0, v0
	s_and_b64 s[0:1], vcc, s[4:5]
	s_and_saveexec_b64 s[4:5], s[0:1]
	s_cbranch_execz .LBB33_54
; %bb.53:
	s_lshl_b64 s[0:1], s[2:3], 3
	s_waitcnt lgkmcnt(0)
	s_add_u32 s0, s10, s0
	s_addc_u32 s1, s11, s1
	v_mov_b32_e32 v0, 0
	global_store_dwordx2 v0, v[36:37], s[0:1]
.LBB33_54:
	s_endpgm
	.section	.rodata,"a",@progbits
	.p2align	6, 0x0
	.amdhsa_kernel _ZN2at4cuda3cub15calc_block_sumsILi256ELi16ELb0EllEEvPKT2_PT3_li
		.amdhsa_group_segment_fixed_size 32
		.amdhsa_private_segment_fixed_size 0
		.amdhsa_kernarg_size 28
		.amdhsa_user_sgpr_count 2
		.amdhsa_user_sgpr_dispatch_ptr 0
		.amdhsa_user_sgpr_queue_ptr 0
		.amdhsa_user_sgpr_kernarg_segment_ptr 1
		.amdhsa_user_sgpr_dispatch_id 0
		.amdhsa_user_sgpr_kernarg_preload_length 0
		.amdhsa_user_sgpr_kernarg_preload_offset 0
		.amdhsa_user_sgpr_private_segment_size 0
		.amdhsa_uses_dynamic_stack 0
		.amdhsa_enable_private_segment 0
		.amdhsa_system_sgpr_workgroup_id_x 1
		.amdhsa_system_sgpr_workgroup_id_y 0
		.amdhsa_system_sgpr_workgroup_id_z 0
		.amdhsa_system_sgpr_workgroup_info 0
		.amdhsa_system_vgpr_workitem_id 0
		.amdhsa_next_free_vgpr 50
		.amdhsa_next_free_sgpr 15
		.amdhsa_accum_offset 52
		.amdhsa_reserve_vcc 1
		.amdhsa_float_round_mode_32 0
		.amdhsa_float_round_mode_16_64 0
		.amdhsa_float_denorm_mode_32 3
		.amdhsa_float_denorm_mode_16_64 3
		.amdhsa_dx10_clamp 1
		.amdhsa_ieee_mode 1
		.amdhsa_fp16_overflow 0
		.amdhsa_tg_split 0
		.amdhsa_exception_fp_ieee_invalid_op 0
		.amdhsa_exception_fp_denorm_src 0
		.amdhsa_exception_fp_ieee_div_zero 0
		.amdhsa_exception_fp_ieee_overflow 0
		.amdhsa_exception_fp_ieee_underflow 0
		.amdhsa_exception_fp_ieee_inexact 0
		.amdhsa_exception_int_div_zero 0
	.end_amdhsa_kernel
	.section	.text._ZN2at4cuda3cub15calc_block_sumsILi256ELi16ELb0EllEEvPKT2_PT3_li,"axG",@progbits,_ZN2at4cuda3cub15calc_block_sumsILi256ELi16ELb0EllEEvPKT2_PT3_li,comdat
.Lfunc_end33:
	.size	_ZN2at4cuda3cub15calc_block_sumsILi256ELi16ELb0EllEEvPKT2_PT3_li, .Lfunc_end33-_ZN2at4cuda3cub15calc_block_sumsILi256ELi16ELb0EllEEvPKT2_PT3_li
                                        ; -- End function
	.set _ZN2at4cuda3cub15calc_block_sumsILi256ELi16ELb0EllEEvPKT2_PT3_li.num_vgpr, 50
	.set _ZN2at4cuda3cub15calc_block_sumsILi256ELi16ELb0EllEEvPKT2_PT3_li.num_agpr, 0
	.set _ZN2at4cuda3cub15calc_block_sumsILi256ELi16ELb0EllEEvPKT2_PT3_li.numbered_sgpr, 15
	.set _ZN2at4cuda3cub15calc_block_sumsILi256ELi16ELb0EllEEvPKT2_PT3_li.num_named_barrier, 0
	.set _ZN2at4cuda3cub15calc_block_sumsILi256ELi16ELb0EllEEvPKT2_PT3_li.private_seg_size, 0
	.set _ZN2at4cuda3cub15calc_block_sumsILi256ELi16ELb0EllEEvPKT2_PT3_li.uses_vcc, 1
	.set _ZN2at4cuda3cub15calc_block_sumsILi256ELi16ELb0EllEEvPKT2_PT3_li.uses_flat_scratch, 0
	.set _ZN2at4cuda3cub15calc_block_sumsILi256ELi16ELb0EllEEvPKT2_PT3_li.has_dyn_sized_stack, 0
	.set _ZN2at4cuda3cub15calc_block_sumsILi256ELi16ELb0EllEEvPKT2_PT3_li.has_recursion, 0
	.set _ZN2at4cuda3cub15calc_block_sumsILi256ELi16ELb0EllEEvPKT2_PT3_li.has_indirect_call, 0
	.section	.AMDGPU.csdata,"",@progbits
; Kernel info:
; codeLenInByte = 2884
; TotalNumSgprs: 21
; NumVgprs: 50
; NumAgprs: 0
; TotalNumVgprs: 50
; ScratchSize: 0
; MemoryBound: 1
; FloatMode: 240
; IeeeMode: 1
; LDSByteSize: 32 bytes/workgroup (compile time only)
; SGPRBlocks: 2
; VGPRBlocks: 6
; NumSGPRsForWavesPerEU: 21
; NumVGPRsForWavesPerEU: 50
; AccumOffset: 52
; Occupancy: 8
; WaveLimiterHint : 1
; COMPUTE_PGM_RSRC2:SCRATCH_EN: 0
; COMPUTE_PGM_RSRC2:USER_SGPR: 2
; COMPUTE_PGM_RSRC2:TRAP_HANDLER: 0
; COMPUTE_PGM_RSRC2:TGID_X_EN: 1
; COMPUTE_PGM_RSRC2:TGID_Y_EN: 0
; COMPUTE_PGM_RSRC2:TGID_Z_EN: 0
; COMPUTE_PGM_RSRC2:TIDIG_COMP_CNT: 0
; COMPUTE_PGM_RSRC3_GFX90A:ACCUM_OFFSET: 12
; COMPUTE_PGM_RSRC3_GFX90A:TG_SPLIT: 0
	.section	.text._ZN2at4cuda3cub17final_scan_kernelILi256ELi16ElEEvPKT1_PS3_S6_li,"axG",@progbits,_ZN2at4cuda3cub17final_scan_kernelILi256ELi16ElEEvPKT1_PS3_S6_li,comdat
	.protected	_ZN2at4cuda3cub17final_scan_kernelILi256ELi16ElEEvPKT1_PS3_S6_li ; -- Begin function _ZN2at4cuda3cub17final_scan_kernelILi256ELi16ElEEvPKT1_PS3_S6_li
	.globl	_ZN2at4cuda3cub17final_scan_kernelILi256ELi16ElEEvPKT1_PS3_S6_li
	.p2align	8
	.type	_ZN2at4cuda3cub17final_scan_kernelILi256ELi16ElEEvPKT1_PS3_S6_li,@function
_ZN2at4cuda3cub17final_scan_kernelILi256ELi16ElEEvPKT1_PS3_S6_li: ; @_ZN2at4cuda3cub17final_scan_kernelILi256ELi16ElEEvPKT1_PS3_S6_li
; %bb.0:
	s_load_dword s33, s[0:1], 0x20
	s_load_dwordx8 s[36:43], s[0:1], 0x0
	s_waitcnt lgkmcnt(0)
	s_lshl_b32 s3, s33, 12
	s_ashr_i32 s4, s3, 31
	s_mul_hi_u32 s5, s3, s2
	s_mul_i32 s4, s4, s2
	s_add_i32 s31, s5, s4
	s_mul_i32 s30, s3, s2
	s_sub_u32 s34, s42, s30
	s_subb_u32 s35, s43, s31
	v_cmp_lt_i64_e64 s[4:5], s[34:35], 1
	s_and_b64 vcc, exec, s[4:5]
	s_cbranch_vccnz .LBB34_100
; %bb.1:
	v_cmp_gt_u32_e32 vcc, s2, v0
	v_mov_b64_e32 v[2:3], 0
	v_lshlrev_b32_e32 v82, 3, v0
	s_and_saveexec_b64 s[4:5], vcc
	s_cbranch_execz .LBB34_3
; %bb.2:
	global_load_dwordx2 v[2:3], v82, s[40:41]
.LBB34_3:
	s_or_b64 exec, exec, s[4:5]
	s_load_dword s0, s[0:1], 0x34
	s_waitcnt lgkmcnt(0)
	s_and_b32 s3, s0, 0xffff
	v_add_u32_e32 v4, s3, v0
	v_cmp_gt_u32_e32 vcc, s2, v4
	s_and_saveexec_b64 s[0:1], vcc
	s_cbranch_execz .LBB34_7
; %bb.4:
	s_mov_b64 s[4:5], 0
	v_mov_b32_e32 v5, 0
.LBB34_5:                               ; =>This Inner Loop Header: Depth=1
	v_lshl_add_u64 v[6:7], v[4:5], 3, s[40:41]
	global_load_dwordx2 v[6:7], v[6:7], off
	v_add_u32_e32 v4, s3, v4
	v_cmp_le_u32_e32 vcc, s2, v4
	s_or_b64 s[4:5], vcc, s[4:5]
	s_waitcnt vmcnt(0)
	v_lshl_add_u64 v[2:3], v[6:7], 0, v[2:3]
	s_andn2_b64 exec, exec, s[4:5]
	s_cbranch_execnz .LBB34_5
; %bb.6:
	s_or_b64 exec, exec, s[4:5]
.LBB34_7:
	s_or_b64 exec, exec, s[0:1]
	v_mov_b32_e32 v6, 0
	s_waitcnt vmcnt(0)
	v_mov_b32_dpp v4, v2 quad_perm:[1,0,3,2] row_mask:0xf bank_mask:0xf
	v_mov_b32_e32 v5, v6
	v_mov_b32_dpp v7, v3 quad_perm:[1,0,3,2] row_mask:0xf bank_mask:0xf
	v_lshl_add_u64 v[2:3], v[2:3], 0, v[4:5]
	v_lshl_add_u64 v[4:5], v[6:7], 0, v[2:3]
	v_mov_b32_e32 v3, v6
	v_mov_b32_dpp v2, v2 quad_perm:[2,3,0,1] row_mask:0xf bank_mask:0xf
	v_mov_b32_dpp v7, v5 quad_perm:[2,3,0,1] row_mask:0xf bank_mask:0xf
	v_lshl_add_u64 v[2:3], v[4:5], 0, v[2:3]
	v_lshl_add_u64 v[4:5], v[2:3], 0, v[6:7]
	v_mov_b32_e32 v3, v6
	v_mov_b32_dpp v2, v2 row_ror:4 row_mask:0xf bank_mask:0xf
	v_mov_b32_dpp v7, v5 row_ror:4 row_mask:0xf bank_mask:0xf
	v_lshl_add_u64 v[2:3], v[4:5], 0, v[2:3]
	v_lshl_add_u64 v[4:5], v[2:3], 0, v[6:7]
	v_mov_b32_e32 v3, v6
	v_mov_b32_dpp v2, v2 row_ror:8 row_mask:0xf bank_mask:0xf
	v_mov_b32_dpp v7, v5 row_ror:8 row_mask:0xf bank_mask:0xf
	v_lshl_add_u64 v[2:3], v[4:5], 0, v[2:3]
	v_lshl_add_u64 v[4:5], v[2:3], 0, v[6:7]
	v_mov_b32_e32 v3, v6
	v_mov_b32_dpp v2, v2 row_bcast:15 row_mask:0xf bank_mask:0xf
	v_mov_b32_dpp v7, v5 row_bcast:15 row_mask:0xf bank_mask:0xf
	v_lshl_add_u64 v[2:3], v[4:5], 0, v[2:3]
	v_mbcnt_lo_u32_b32 v1, -1, 0
	v_lshl_add_u64 v[4:5], v[2:3], 0, v[6:7]
	v_mov_b32_dpp v2, v2 row_bcast:31 row_mask:0xf bank_mask:0xf
	v_mov_b32_e32 v3, v6
	v_mbcnt_hi_u32_b32 v1, -1, v1
	v_mov_b32_dpp v7, v5 row_bcast:31 row_mask:0xf bank_mask:0xf
	v_lshl_add_u64 v[2:3], v[4:5], 0, v[2:3]
	v_add_u32_e32 v4, v7, v3
	v_lshlrev_b32_e32 v3, 2, v1
	v_or_b32_e32 v5, 0xfc, v3
	ds_bpermute_b32 v34, v5, v2
	ds_bpermute_b32 v35, v5, v4
	v_cmp_ne_u32_e64 s[0:1], 0, v1
	v_cmp_eq_u32_e64 s[2:3], 0, v1
	s_and_saveexec_b64 s[4:5], s[2:3]
	s_cbranch_execz .LBB34_9
; %bb.8:
	v_lshrrev_b32_e32 v2, 3, v0
	v_and_b32_e32 v2, 0x78, v2
	s_waitcnt lgkmcnt(0)
	ds_write_b64 v2, v[34:35]
.LBB34_9:
	s_or_b64 exec, exec, s[4:5]
	v_cmp_lt_u32_e64 s[4:5], 63, v0
	v_cmp_gt_u32_e64 s[6:7], 64, v0
	v_and_b32_e32 v2, 3, v1
	s_waitcnt lgkmcnt(0)
	s_barrier
	s_and_saveexec_b64 s[8:9], s[6:7]
	s_cbranch_execz .LBB34_11
; %bb.10:
	v_lshlrev_b32_e32 v4, 3, v2
	ds_read_b64 v[4:5], v4
	v_cmp_ne_u32_e32 vcc, 3, v2
	v_mov_b32_e32 v8, 0
	v_or_b32_e32 v3, 8, v3
	v_addc_co_u32_e32 v6, vcc, 0, v1, vcc
	v_lshlrev_b32_e32 v7, 2, v6
	s_waitcnt lgkmcnt(0)
	ds_bpermute_b32 v6, v7, v4
	ds_bpermute_b32 v9, v7, v5
	v_mov_b32_e32 v7, v8
	s_waitcnt lgkmcnt(1)
	v_lshl_add_u64 v[4:5], v[4:5], 0, v[6:7]
	s_waitcnt lgkmcnt(0)
	v_lshl_add_u64 v[6:7], v[8:9], 0, v[4:5]
	ds_bpermute_b32 v4, v3, v4
	ds_bpermute_b32 v9, v3, v7
	v_mov_b32_e32 v5, v8
	s_waitcnt lgkmcnt(1)
	v_lshl_add_u64 v[4:5], v[6:7], 0, v[4:5]
	s_waitcnt lgkmcnt(0)
	v_lshl_add_u64 v[34:35], v[4:5], 0, v[8:9]
.LBB34_11:
	s_or_b64 exec, exec, s[8:9]
	s_cmp_lt_i32 s33, 1
	s_barrier
	s_cbranch_scc1 .LBB34_100
; %bb.12:
	v_lshlrev_b32_e32 v3, 4, v0
	s_movk_i32 s8, 0x3c00
	v_and_or_b32 v83, v3, s8, v1
	v_lshrrev_b32_e32 v3, 2, v83
	v_add_u32_e32 v84, 64, v83
	v_and_b32_e32 v3, 0xf18, v3
	v_lshlrev_b32_e32 v4, 3, v83
	v_add_u32_e32 v99, v3, v4
	v_lshrrev_b32_e32 v3, 2, v84
	v_or_b32_e32 v85, 0x80, v83
	v_and_b32_e32 v3, 0xf38, v3
	v_add_u32_e32 v100, v3, v4
	v_lshrrev_b32_e32 v3, 2, v85
	v_add_u32_e32 v86, 0xc0, v83
	v_and_b32_e32 v3, 0xf38, v3
	v_add_u32_e32 v101, v3, v4
	v_lshrrev_b32_e32 v3, 2, v86
	v_or_b32_e32 v87, 0x100, v83
	v_and_b32_e32 v3, 0xf78, v3
	v_add_u32_e32 v102, v3, v4
	v_lshrrev_b32_e32 v3, 2, v87
	v_add_u32_e32 v88, 0x140, v83
	v_and_b32_e32 v3, 0xf58, v3
	;; [unrolled: 8-line block ×7, first 2 shown]
	v_add_u32_e32 v113, v3, v4
	v_lshrrev_b32_e32 v3, 2, v98
	v_and_b32_e32 v3, 0x1ff8, v3
	v_add_u32_e32 v114, v3, v4
	v_and_b32_e32 v3, 0x3c0, v0
	v_add_u32_e32 v4, v1, v3
	v_min_u32_e32 v3, 0xc0, v3
	v_lshlrev_b32_e32 v5, 4, v4
	v_bfe_u32 v4, v4, 1, 27
	v_or_b32_e32 v3, 63, v3
	v_add_lshl_u32 v115, v4, v5, 3
	v_and_b32_e32 v4, 15, v1
	v_cmp_eq_u32_e64 s[20:21], v0, v3
	v_cmp_eq_u32_e64 s[24:25], 0, v2
	v_cmp_lt_u32_e64 s[26:27], 1, v2
	v_add_u32_e32 v2, -1, v1
	v_and_b32_e32 v3, 64, v1
	v_cmp_eq_u32_e64 s[8:9], 0, v4
	v_cmp_lt_u32_e64 s[10:11], 1, v4
	v_cmp_lt_u32_e64 s[12:13], 3, v4
	v_cmp_lt_u32_e64 s[14:15], 7, v4
	v_and_b32_e32 v4, 16, v1
	v_cmp_lt_i32_e32 vcc, v2, v3
	v_cmp_eq_u32_e64 s[16:17], 0, v4
	v_lshrrev_b32_e32 v4, 6, v0
	v_cmp_gt_u32_e64 s[22:23], 4, v0
	v_cndmask_b32_e32 v2, v2, v1, vcc
	v_cmp_eq_u32_e64 s[28:29], 0, v0
	v_mov_b32_e32 v0, 0
	v_lshlrev_b32_e32 v116, 2, v2
	v_lshlrev_b32_e32 v2, 13, v4
	v_mov_b32_e32 v3, v0
	v_lshlrev_b32_e32 v117, 3, v4
	v_lshl_add_u64 v[2:3], s[30:31], 3, v[2:3]
	v_cmp_lt_u32_e64 s[18:19], 31, v1
	v_lshlrev_b32_e32 v36, 3, v1
	v_mov_b32_e32 v37, v0
	v_lshl_add_u64 v[38:39], s[36:37], 0, v[2:3]
	v_lshl_add_u64 v[40:41], s[38:39], 0, v[2:3]
	s_mov_b64 s[36:37], 0x8000
	v_add_u32_e32 v118, -8, v117
	v_mov_b64_e32 v[42:43], 0x1000
	v_mov_b64_e32 v[44:45], 0xfff
	;; [unrolled: 1-line block ×3, first 2 shown]
	s_branch .LBB34_14
.LBB34_13:                              ;   in Loop: Header=BB34_14 Depth=1
	s_andn2_b64 vcc, exec, s[30:31]
	s_cbranch_vccz .LBB34_100
.LBB34_14:                              ; =>This Inner Loop Header: Depth=1
	v_cmp_gt_i64_e32 vcc, s[34:35], v[44:45]
	s_mov_b64 s[38:39], -1
	v_cmp_gt_u32_e64 s[30:31], s34, v83
	s_cbranch_vccnz .LBB34_33
; %bb.15:                               ;   in Loop: Header=BB34_14 Depth=1
	v_mov_b32_e32 v2, v0
	v_mov_b32_e32 v3, v0
	;; [unrolled: 1-line block ×18, first 2 shown]
	s_waitcnt lgkmcnt(0)
	v_mov_b32_e32 v20, v0
	v_mov_b32_e32 v21, v0
	;; [unrolled: 1-line block ×13, first 2 shown]
	v_mov_b64_e32 v[32:33], v[30:31]
	v_lshl_add_u64 v[48:49], v[38:39], 0, v[36:37]
	v_mov_b64_e32 v[30:31], v[28:29]
	v_mov_b64_e32 v[28:29], v[26:27]
	;; [unrolled: 1-line block ×15, first 2 shown]
	s_and_saveexec_b64 s[38:39], s[30:31]
	s_cbranch_execnz .LBB34_85
; %bb.16:                               ;   in Loop: Header=BB34_14 Depth=1
	s_or_b64 exec, exec, s[38:39]
	v_cmp_gt_u32_e32 vcc, s34, v84
	s_and_saveexec_b64 s[30:31], vcc
	s_cbranch_execnz .LBB34_86
.LBB34_17:                              ;   in Loop: Header=BB34_14 Depth=1
	s_or_b64 exec, exec, s[30:31]
	v_cmp_gt_u32_e32 vcc, s34, v85
	s_and_saveexec_b64 s[30:31], vcc
	s_cbranch_execnz .LBB34_87
.LBB34_18:                              ;   in Loop: Header=BB34_14 Depth=1
	s_or_b64 exec, exec, s[30:31]
	v_cmp_gt_u32_e32 vcc, s34, v86
	s_and_saveexec_b64 s[30:31], vcc
	s_cbranch_execnz .LBB34_88
.LBB34_19:                              ;   in Loop: Header=BB34_14 Depth=1
	s_or_b64 exec, exec, s[30:31]
	v_cmp_gt_u32_e32 vcc, s34, v87
	s_and_saveexec_b64 s[30:31], vcc
	s_cbranch_execnz .LBB34_89
.LBB34_20:                              ;   in Loop: Header=BB34_14 Depth=1
	s_or_b64 exec, exec, s[30:31]
	v_cmp_gt_u32_e32 vcc, s34, v88
	s_and_saveexec_b64 s[30:31], vcc
	s_cbranch_execnz .LBB34_90
.LBB34_21:                              ;   in Loop: Header=BB34_14 Depth=1
	s_or_b64 exec, exec, s[30:31]
	v_cmp_gt_u32_e32 vcc, s34, v89
	s_and_saveexec_b64 s[30:31], vcc
	s_cbranch_execnz .LBB34_91
.LBB34_22:                              ;   in Loop: Header=BB34_14 Depth=1
	s_or_b64 exec, exec, s[30:31]
	v_cmp_gt_u32_e32 vcc, s34, v90
	s_and_saveexec_b64 s[30:31], vcc
	s_cbranch_execnz .LBB34_92
.LBB34_23:                              ;   in Loop: Header=BB34_14 Depth=1
	s_or_b64 exec, exec, s[30:31]
	v_cmp_gt_u32_e32 vcc, s34, v91
	s_and_saveexec_b64 s[30:31], vcc
	s_cbranch_execnz .LBB34_93
.LBB34_24:                              ;   in Loop: Header=BB34_14 Depth=1
	s_or_b64 exec, exec, s[30:31]
	v_cmp_gt_u32_e32 vcc, s34, v92
	s_and_saveexec_b64 s[30:31], vcc
	s_cbranch_execnz .LBB34_94
.LBB34_25:                              ;   in Loop: Header=BB34_14 Depth=1
	s_or_b64 exec, exec, s[30:31]
	v_cmp_gt_u32_e32 vcc, s34, v93
	s_and_saveexec_b64 s[30:31], vcc
	s_cbranch_execnz .LBB34_95
.LBB34_26:                              ;   in Loop: Header=BB34_14 Depth=1
	s_or_b64 exec, exec, s[30:31]
	v_cmp_gt_u32_e32 vcc, s34, v94
	s_and_saveexec_b64 s[30:31], vcc
	s_cbranch_execnz .LBB34_96
.LBB34_27:                              ;   in Loop: Header=BB34_14 Depth=1
	s_or_b64 exec, exec, s[30:31]
	v_cmp_gt_u32_e32 vcc, s34, v95
	s_and_saveexec_b64 s[30:31], vcc
	s_cbranch_execnz .LBB34_97
.LBB34_28:                              ;   in Loop: Header=BB34_14 Depth=1
	s_or_b64 exec, exec, s[30:31]
	v_cmp_gt_u32_e32 vcc, s34, v96
	s_and_saveexec_b64 s[30:31], vcc
	s_cbranch_execnz .LBB34_98
.LBB34_29:                              ;   in Loop: Header=BB34_14 Depth=1
	s_or_b64 exec, exec, s[30:31]
	v_cmp_gt_u32_e32 vcc, s34, v97
	s_and_saveexec_b64 s[30:31], vcc
	s_cbranch_execnz .LBB34_99
.LBB34_30:                              ;   in Loop: Header=BB34_14 Depth=1
	s_or_b64 exec, exec, s[30:31]
	v_cmp_gt_u32_e32 vcc, s34, v98
	s_and_saveexec_b64 s[30:31], vcc
	s_cbranch_execz .LBB34_32
.LBB34_31:                              ;   in Loop: Header=BB34_14 Depth=1
	v_add_co_u32_e32 v32, vcc, 0x1000, v48
	s_nop 1
	v_addc_co_u32_e32 v33, vcc, 0, v49, vcc
	global_load_dwordx2 v[32:33], v[32:33], off offset:3584
.LBB34_32:                              ;   in Loop: Header=BB34_14 Depth=1
	s_or_b64 exec, exec, s[30:31]
	s_mov_b64 s[38:39], 0
	s_waitcnt vmcnt(0)
	ds_write_b64 v99, v[2:3]
	ds_write_b64 v100, v[4:5] offset:512
	ds_write_b64 v101, v[6:7] offset:1024
	;; [unrolled: 1-line block ×15, first 2 shown]
	; wave barrier
.LBB34_33:                              ;   in Loop: Header=BB34_14 Depth=1
	s_and_b64 vcc, exec, s[38:39]
	s_cbranch_vccz .LBB34_35
; %bb.34:                               ;   in Loop: Header=BB34_14 Depth=1
	v_lshl_add_u64 v[2:3], v[38:39], 0, v[36:37]
	global_load_dwordx2 v[4:5], v[2:3], off
	global_load_dwordx2 v[6:7], v[2:3], off offset:512
	global_load_dwordx2 v[8:9], v[2:3], off offset:1024
	;; [unrolled: 1-line block ×7, first 2 shown]
	v_add_co_u32_e32 v2, vcc, 0x1000, v2
	s_nop 1
	v_addc_co_u32_e32 v3, vcc, 0, v3, vcc
	s_waitcnt lgkmcnt(0)
	global_load_dwordx2 v[20:21], v[2:3], off
	global_load_dwordx2 v[22:23], v[2:3], off offset:512
	global_load_dwordx2 v[24:25], v[2:3], off offset:1024
	;; [unrolled: 1-line block ×6, first 2 shown]
	s_nop 0
	global_load_dwordx2 v[2:3], v[2:3], off offset:3584
	s_waitcnt vmcnt(15)
	ds_write_b64 v99, v[4:5]
	s_waitcnt vmcnt(14)
	ds_write_b64 v100, v[6:7] offset:512
	s_waitcnt vmcnt(13)
	ds_write_b64 v101, v[8:9] offset:1024
	;; [unrolled: 2-line block ×15, first 2 shown]
	; wave barrier
.LBB34_35:                              ;   in Loop: Header=BB34_14 Depth=1
	ds_read2_b64 v[2:5], v115 offset1:1
	ds_read2_b64 v[6:9], v115 offset0:2 offset1:3
	ds_read2_b64 v[10:13], v115 offset0:4 offset1:5
	;; [unrolled: 1-line block ×3, first 2 shown]
	s_waitcnt lgkmcnt(4)
	ds_read2_b64 v[18:21], v115 offset0:8 offset1:9
	ds_read2_b64 v[22:25], v115 offset0:10 offset1:11
	;; [unrolled: 1-line block ×4, first 2 shown]
	s_waitcnt lgkmcnt(7)
	v_lshl_add_u64 v[48:49], v[4:5], 0, v[2:3]
	s_waitcnt lgkmcnt(6)
	v_lshl_add_u64 v[48:49], v[48:49], 0, v[6:7]
	v_lshl_add_u64 v[48:49], v[48:49], 0, v[8:9]
	s_waitcnt lgkmcnt(5)
	v_lshl_add_u64 v[48:49], v[48:49], 0, v[10:11]
	;; [unrolled: 3-line block ×7, first 2 shown]
	v_lshl_add_u64 v[48:49], v[48:49], 0, v[32:33]
	v_mov_b32_e32 v51, v0
	s_nop 0
	v_mov_b32_dpp v50, v48 row_shr:1 row_mask:0xf bank_mask:0xf
	v_mov_b32_dpp v1, v49 row_shr:1 row_mask:0xf bank_mask:0xf
	v_lshl_add_u64 v[50:51], v[48:49], 0, v[50:51]
	v_lshl_add_u64 v[52:53], v[50:51], 0, v[0:1]
	v_cndmask_b32_e64 v1, v50, v48, s[8:9]
	v_cndmask_b32_e64 v51, v53, v49, s[8:9]
	v_cndmask_b32_e64 v50, v52, v48, s[8:9]
	v_mov_b32_dpp v52, v1 row_shr:2 row_mask:0xf bank_mask:0xf
	v_mov_b32_dpp v53, v51 row_shr:2 row_mask:0xf bank_mask:0xf
	v_lshl_add_u64 v[52:53], v[52:53], 0, v[50:51]
	v_cndmask_b32_e64 v1, v1, v52, s[10:11]
	v_cndmask_b32_e64 v51, v51, v53, s[10:11]
	v_cndmask_b32_e64 v50, v50, v52, s[10:11]
	v_mov_b32_dpp v52, v1 row_shr:4 row_mask:0xf bank_mask:0xf
	v_mov_b32_dpp v53, v51 row_shr:4 row_mask:0xf bank_mask:0xf
	v_lshl_add_u64 v[52:53], v[52:53], 0, v[50:51]
	v_cndmask_b32_e64 v1, v1, v52, s[12:13]
	v_cndmask_b32_e64 v51, v51, v53, s[12:13]
	v_cndmask_b32_e64 v50, v50, v52, s[12:13]
	v_mov_b32_dpp v52, v1 row_shr:8 row_mask:0xf bank_mask:0xf
	v_mov_b32_dpp v53, v51 row_shr:8 row_mask:0xf bank_mask:0xf
	v_lshl_add_u64 v[52:53], v[52:53], 0, v[50:51]
	v_cndmask_b32_e64 v1, v1, v52, s[14:15]
	v_cndmask_b32_e64 v51, v51, v53, s[14:15]
	;; [unrolled: 1-line block ×3, first 2 shown]
	v_mov_b32_dpp v52, v1 row_bcast:15 row_mask:0xf bank_mask:0xf
	v_mov_b32_dpp v53, v51 row_bcast:15 row_mask:0xf bank_mask:0xf
	v_lshl_add_u64 v[52:53], v[52:53], 0, v[50:51]
	v_cndmask_b32_e64 v54, v53, v51, s[16:17]
	v_cndmask_b32_e64 v1, v52, v1, s[16:17]
	s_barrier
	v_mov_b32_dpp v54, v54 row_bcast:31 row_mask:0xf bank_mask:0xf
	v_mov_b32_dpp v1, v1 row_bcast:31 row_mask:0xf bank_mask:0xf
	s_and_saveexec_b64 s[30:31], s[0:1]
; %bb.36:                               ;   in Loop: Header=BB34_14 Depth=1
	v_cndmask_b32_e64 v49, v53, v51, s[16:17]
	v_cndmask_b32_e64 v48, v52, v50, s[16:17]
	v_cndmask_b32_e64 v51, 0, v54, s[18:19]
	v_cndmask_b32_e64 v50, 0, v1, s[18:19]
	v_lshl_add_u64 v[48:49], v[48:49], 0, v[50:51]
; %bb.37:                               ;   in Loop: Header=BB34_14 Depth=1
	s_or_b64 exec, exec, s[30:31]
	s_and_saveexec_b64 s[30:31], s[20:21]
; %bb.38:                               ;   in Loop: Header=BB34_14 Depth=1
	ds_write_b64 v117, v[48:49]
; %bb.39:                               ;   in Loop: Header=BB34_14 Depth=1
	s_or_b64 exec, exec, s[30:31]
	s_waitcnt lgkmcnt(0)
	s_barrier
	s_and_saveexec_b64 s[30:31], s[22:23]
	s_cbranch_execz .LBB34_41
; %bb.40:                               ;   in Loop: Header=BB34_14 Depth=1
	ds_read_b64 v[50:51], v82
	v_mov_b32_e32 v53, v0
	s_waitcnt lgkmcnt(0)
	v_mov_b32_dpp v52, v50 row_shr:1 row_mask:0xf bank_mask:0xf
	v_mov_b32_dpp v1, v51 row_shr:1 row_mask:0xf bank_mask:0xf
	v_lshl_add_u64 v[52:53], v[50:51], 0, v[52:53]
	v_lshl_add_u64 v[54:55], v[0:1], 0, v[52:53]
	v_cndmask_b32_e64 v1, v52, v50, s[24:25]
	v_cndmask_b32_e64 v51, v55, v51, s[24:25]
	;; [unrolled: 1-line block ×3, first 2 shown]
	v_mov_b32_dpp v1, v1 row_shr:2 row_mask:0xf bank_mask:0xf
	v_mov_b32_dpp v52, v51 row_shr:2 row_mask:0xf bank_mask:0xf
	v_cndmask_b32_e64 v53, 0, v52, s[26:27]
	v_cndmask_b32_e64 v52, 0, v1, s[26:27]
	v_lshl_add_u64 v[50:51], v[52:53], 0, v[50:51]
	ds_write_b64 v82, v[50:51]
.LBB34_41:                              ;   in Loop: Header=BB34_14 Depth=1
	s_or_b64 exec, exec, s[30:31]
	s_waitcnt lgkmcnt(0)
	s_barrier
                                        ; implicit-def: $vgpr50_vgpr51
	s_and_saveexec_b64 s[30:31], s[4:5]
	s_cbranch_execz .LBB34_43
; %bb.42:                               ;   in Loop: Header=BB34_14 Depth=1
	ds_read_b64 v[50:51], v118
	s_waitcnt lgkmcnt(0)
	v_lshl_add_u64 v[48:49], v[50:51], 0, v[48:49]
.LBB34_43:                              ;   in Loop: Header=BB34_14 Depth=1
	s_or_b64 exec, exec, s[30:31]
	ds_bpermute_b32 v52, v116, v48
	ds_bpermute_b32 v1, v116, v49
	s_and_saveexec_b64 s[30:31], s[6:7]
	s_cbranch_execz .LBB34_47
; %bb.44:                               ;   in Loop: Header=BB34_14 Depth=1
	ds_read_b64 v[48:49], v0 offset:24
	s_and_saveexec_b64 s[38:39], s[28:29]
; %bb.45:                               ;   in Loop: Header=BB34_14 Depth=1
	ds_write_b64 v0, v[34:35] offset:24
; %bb.46:                               ;   in Loop: Header=BB34_14 Depth=1
	s_or_b64 exec, exec, s[38:39]
	s_waitcnt lgkmcnt(0)
	v_lshl_add_u64 v[34:35], v[48:49], 0, v[34:35]
.LBB34_47:                              ;   in Loop: Header=BB34_14 Depth=1
	s_or_b64 exec, exec, s[30:31]
	s_waitcnt lgkmcnt(0)
	s_barrier
	ds_read_b64 v[48:49], v0 offset:24
	v_cndmask_b32_e64 v50, v52, v50, s[2:3]
	v_cndmask_b32_e64 v1, v1, v51, s[2:3]
	;; [unrolled: 1-line block ×4, first 2 shown]
	v_lshl_add_u64 v[2:3], v[50:51], 0, v[2:3]
	s_waitcnt lgkmcnt(0)
	v_lshl_add_u64 v[60:61], v[2:3], 0, v[48:49]
	v_lshl_add_u64 v[62:63], v[60:61], 0, v[4:5]
	;; [unrolled: 1-line block ×14, first 2 shown]
	v_cmp_lt_i64_e32 vcc, s[34:35], v[42:43]
	v_lshl_add_u64 v[4:5], v[10:11], 0, v[30:31]
	v_lshl_add_u64 v[6:7], v[4:5], 0, v[32:33]
	;; [unrolled: 1-line block ×3, first 2 shown]
	s_barrier
	s_cbranch_vccz .LBB34_70
; %bb.48:                               ;   in Loop: Header=BB34_14 Depth=1
	ds_write2_b64 v115, v[60:61], v[62:63] offset1:1
	ds_write2_b64 v115, v[56:57], v[58:59] offset0:2 offset1:3
	ds_write2_b64 v115, v[52:53], v[54:55] offset0:4 offset1:5
	;; [unrolled: 1-line block ×7, first 2 shown]
	; wave barrier
	ds_read_b64 v[80:81], v99
	ds_read_b64 v[78:79], v100 offset:512
	ds_read_b64 v[76:77], v101 offset:1024
	;; [unrolled: 1-line block ×15, first 2 shown]
	v_cmp_gt_u32_e32 vcc, s34, v83
	s_and_saveexec_b64 s[30:31], vcc
	s_cbranch_execnz .LBB34_71
; %bb.49:                               ;   in Loop: Header=BB34_14 Depth=1
	s_or_b64 exec, exec, s[30:31]
	v_cmp_gt_u32_e32 vcc, s34, v84
	s_and_saveexec_b64 s[30:31], vcc
	s_cbranch_execnz .LBB34_72
.LBB34_50:                              ;   in Loop: Header=BB34_14 Depth=1
	s_or_b64 exec, exec, s[30:31]
	v_cmp_gt_u32_e32 vcc, s34, v85
	s_and_saveexec_b64 s[30:31], vcc
	s_cbranch_execnz .LBB34_73
.LBB34_51:                              ;   in Loop: Header=BB34_14 Depth=1
	s_or_b64 exec, exec, s[30:31]
	v_cmp_gt_u32_e32 vcc, s34, v86
	s_and_saveexec_b64 s[30:31], vcc
	s_cbranch_execnz .LBB34_74
.LBB34_52:                              ;   in Loop: Header=BB34_14 Depth=1
	s_or_b64 exec, exec, s[30:31]
	v_cmp_gt_u32_e32 vcc, s34, v87
	s_and_saveexec_b64 s[30:31], vcc
	s_cbranch_execnz .LBB34_75
.LBB34_53:                              ;   in Loop: Header=BB34_14 Depth=1
	s_or_b64 exec, exec, s[30:31]
	v_cmp_gt_u32_e32 vcc, s34, v88
	s_and_saveexec_b64 s[30:31], vcc
	s_cbranch_execnz .LBB34_76
.LBB34_54:                              ;   in Loop: Header=BB34_14 Depth=1
	s_or_b64 exec, exec, s[30:31]
	v_cmp_gt_u32_e32 vcc, s34, v89
	s_and_saveexec_b64 s[30:31], vcc
	s_cbranch_execnz .LBB34_77
.LBB34_55:                              ;   in Loop: Header=BB34_14 Depth=1
	s_or_b64 exec, exec, s[30:31]
	v_cmp_gt_u32_e32 vcc, s34, v90
	s_and_saveexec_b64 s[30:31], vcc
	s_cbranch_execnz .LBB34_78
.LBB34_56:                              ;   in Loop: Header=BB34_14 Depth=1
	s_or_b64 exec, exec, s[30:31]
	v_cmp_gt_u32_e32 vcc, s34, v91
	s_and_saveexec_b64 s[30:31], vcc
	s_cbranch_execnz .LBB34_79
.LBB34_57:                              ;   in Loop: Header=BB34_14 Depth=1
	s_or_b64 exec, exec, s[30:31]
	v_cmp_gt_u32_e32 vcc, s34, v92
	s_and_saveexec_b64 s[30:31], vcc
	s_cbranch_execnz .LBB34_80
.LBB34_58:                              ;   in Loop: Header=BB34_14 Depth=1
	s_or_b64 exec, exec, s[30:31]
	v_cmp_gt_u32_e32 vcc, s34, v93
	s_and_saveexec_b64 s[30:31], vcc
	s_cbranch_execnz .LBB34_81
.LBB34_59:                              ;   in Loop: Header=BB34_14 Depth=1
	s_or_b64 exec, exec, s[30:31]
	v_cmp_gt_u32_e32 vcc, s34, v94
	s_and_saveexec_b64 s[30:31], vcc
	s_cbranch_execnz .LBB34_82
.LBB34_60:                              ;   in Loop: Header=BB34_14 Depth=1
	s_or_b64 exec, exec, s[30:31]
	v_cmp_gt_u32_e32 vcc, s34, v95
	s_and_saveexec_b64 s[30:31], vcc
	s_cbranch_execnz .LBB34_83
.LBB34_61:                              ;   in Loop: Header=BB34_14 Depth=1
	s_or_b64 exec, exec, s[30:31]
	v_cmp_gt_u32_e32 vcc, s34, v96
	s_and_saveexec_b64 s[30:31], vcc
	s_cbranch_execnz .LBB34_84
.LBB34_62:                              ;   in Loop: Header=BB34_14 Depth=1
	s_or_b64 exec, exec, s[30:31]
	v_cmp_gt_u32_e32 vcc, s34, v97
	s_and_saveexec_b64 s[30:31], vcc
	s_cbranch_execz .LBB34_64
.LBB34_63:                              ;   in Loop: Header=BB34_14 Depth=1
	s_waitcnt lgkmcnt(2)
	v_add_co_u32_e32 v24, vcc, 0x1000, v2
	s_nop 1
	v_addc_co_u32_e32 v25, vcc, 0, v3, vcc
	s_waitcnt lgkmcnt(1)
	global_store_dwordx2 v[24:25], v[22:23], off offset:3072
.LBB34_64:                              ;   in Loop: Header=BB34_14 Depth=1
	s_or_b64 exec, exec, s[30:31]
	v_cmp_gt_u32_e64 s[30:31], s34, v98
	s_branch .LBB34_66
.LBB34_65:                              ;   in Loop: Header=BB34_14 Depth=1
	ds_write2_b64 v115, v[60:61], v[62:63] offset1:1
	ds_write2_b64 v115, v[56:57], v[58:59] offset0:2 offset1:3
	ds_write2_b64 v115, v[52:53], v[54:55] offset0:4 offset1:5
	;; [unrolled: 1-line block ×7, first 2 shown]
	; wave barrier
	ds_read_b64 v[4:5], v99
	ds_read_b64 v[6:7], v100 offset:512
	ds_read_b64 v[8:9], v101 offset:1024
	;; [unrolled: 1-line block ×7, first 2 shown]
	s_waitcnt lgkmcnt(14)
	ds_read_b64 v[22:23], v107 offset:4096
	ds_read_b64 v[24:25], v108 offset:4608
	;; [unrolled: 1-line block ×8, first 2 shown]
	s_waitcnt lgkmcnt(14)
	global_store_dwordx2 v[2:3], v[4:5], off
	global_store_dwordx2 v[2:3], v[6:7], off offset:512
	s_waitcnt lgkmcnt(13)
	global_store_dwordx2 v[2:3], v[8:9], off offset:1024
	s_waitcnt lgkmcnt(12)
	;; [unrolled: 2-line block ×6, first 2 shown]
	global_store_dwordx2 v[2:3], v[18:19], off offset:3584
	v_add_co_u32_e32 v4, vcc, 0x1000, v2
	s_or_b64 s[30:31], s[30:31], exec
	s_nop 0
	v_addc_co_u32_e32 v5, vcc, 0, v3, vcc
	s_waitcnt lgkmcnt(7)
	global_store_dwordx2 v[4:5], v[22:23], off
	s_waitcnt lgkmcnt(6)
	global_store_dwordx2 v[4:5], v[24:25], off offset:512
	s_waitcnt lgkmcnt(5)
	global_store_dwordx2 v[4:5], v[26:27], off offset:1024
	;; [unrolled: 2-line block ×6, first 2 shown]
.LBB34_66:                              ;   in Loop: Header=BB34_14 Depth=1
	s_and_saveexec_b64 s[38:39], s[30:31]
	s_cbranch_execz .LBB34_68
; %bb.67:                               ;   in Loop: Header=BB34_14 Depth=1
	v_add_co_u32_e32 v2, vcc, 0x1000, v2
	s_nop 1
	v_addc_co_u32_e32 v3, vcc, 0, v3, vcc
	s_waitcnt lgkmcnt(0)
	global_store_dwordx2 v[2:3], v[20:21], off offset:3584
.LBB34_68:                              ;   in Loop: Header=BB34_14 Depth=1
	s_or_b64 exec, exec, s[38:39]
	v_cmp_lt_i64_e32 vcc, s[34:35], v[46:47]
	s_mov_b64 s[30:31], -1
	s_cbranch_vccnz .LBB34_13
; %bb.69:                               ;   in Loop: Header=BB34_14 Depth=1
	s_add_u32 s34, s34, 0xfffff000
	s_addc_u32 s35, s35, -1
	s_add_i32 s33, s33, -1
	s_cmp_eq_u32 s33, 0
	v_lshl_add_u64 v[38:39], v[38:39], 0, s[36:37]
	v_lshl_add_u64 v[40:41], v[40:41], 0, s[36:37]
	s_cselect_b64 s[30:31], -1, 0
	s_waitcnt lgkmcnt(0)
	s_barrier
	s_branch .LBB34_13
.LBB34_70:                              ;   in Loop: Header=BB34_14 Depth=1
	s_mov_b64 s[30:31], 0
                                        ; implicit-def: $vgpr20_vgpr21
	s_cbranch_execnz .LBB34_65
	s_branch .LBB34_66
.LBB34_71:                              ;   in Loop: Header=BB34_14 Depth=1
	s_waitcnt lgkmcnt(14)
	global_store_dwordx2 v[2:3], v[80:81], off
	s_or_b64 exec, exec, s[30:31]
	v_cmp_gt_u32_e32 vcc, s34, v84
	s_and_saveexec_b64 s[30:31], vcc
	s_cbranch_execz .LBB34_50
.LBB34_72:                              ;   in Loop: Header=BB34_14 Depth=1
	s_waitcnt lgkmcnt(14)
	global_store_dwordx2 v[2:3], v[78:79], off offset:512
	s_or_b64 exec, exec, s[30:31]
	v_cmp_gt_u32_e32 vcc, s34, v85
	s_and_saveexec_b64 s[30:31], vcc
	s_cbranch_execz .LBB34_51
.LBB34_73:                              ;   in Loop: Header=BB34_14 Depth=1
	s_waitcnt lgkmcnt(13)
	global_store_dwordx2 v[2:3], v[76:77], off offset:1024
	s_or_b64 exec, exec, s[30:31]
	v_cmp_gt_u32_e32 vcc, s34, v86
	s_and_saveexec_b64 s[30:31], vcc
	s_cbranch_execz .LBB34_52
.LBB34_74:                              ;   in Loop: Header=BB34_14 Depth=1
	s_waitcnt lgkmcnt(12)
	global_store_dwordx2 v[2:3], v[74:75], off offset:1536
	s_or_b64 exec, exec, s[30:31]
	v_cmp_gt_u32_e32 vcc, s34, v87
	s_and_saveexec_b64 s[30:31], vcc
	s_cbranch_execz .LBB34_53
.LBB34_75:                              ;   in Loop: Header=BB34_14 Depth=1
	s_waitcnt lgkmcnt(11)
	global_store_dwordx2 v[2:3], v[72:73], off offset:2048
	s_or_b64 exec, exec, s[30:31]
	v_cmp_gt_u32_e32 vcc, s34, v88
	s_and_saveexec_b64 s[30:31], vcc
	s_cbranch_execz .LBB34_54
.LBB34_76:                              ;   in Loop: Header=BB34_14 Depth=1
	s_waitcnt lgkmcnt(10)
	global_store_dwordx2 v[2:3], v[70:71], off offset:2560
	s_or_b64 exec, exec, s[30:31]
	v_cmp_gt_u32_e32 vcc, s34, v89
	s_and_saveexec_b64 s[30:31], vcc
	s_cbranch_execz .LBB34_55
.LBB34_77:                              ;   in Loop: Header=BB34_14 Depth=1
	s_waitcnt lgkmcnt(9)
	global_store_dwordx2 v[2:3], v[68:69], off offset:3072
	s_or_b64 exec, exec, s[30:31]
	v_cmp_gt_u32_e32 vcc, s34, v90
	s_and_saveexec_b64 s[30:31], vcc
	s_cbranch_execz .LBB34_56
.LBB34_78:                              ;   in Loop: Header=BB34_14 Depth=1
	s_waitcnt lgkmcnt(8)
	global_store_dwordx2 v[2:3], v[66:67], off offset:3584
	s_or_b64 exec, exec, s[30:31]
	v_cmp_gt_u32_e32 vcc, s34, v91
	s_and_saveexec_b64 s[30:31], vcc
	s_cbranch_execz .LBB34_57
.LBB34_79:                              ;   in Loop: Header=BB34_14 Depth=1
	s_waitcnt lgkmcnt(8)
	v_add_co_u32_e32 v66, vcc, 0x1000, v2
	s_nop 1
	v_addc_co_u32_e32 v67, vcc, 0, v3, vcc
	s_waitcnt lgkmcnt(7)
	global_store_dwordx2 v[66:67], v[64:65], off
	s_or_b64 exec, exec, s[30:31]
	v_cmp_gt_u32_e32 vcc, s34, v92
	s_and_saveexec_b64 s[30:31], vcc
	s_cbranch_execz .LBB34_58
.LBB34_80:                              ;   in Loop: Header=BB34_14 Depth=1
	s_waitcnt lgkmcnt(7)
	v_add_co_u32_e32 v64, vcc, 0x1000, v2
	s_nop 1
	v_addc_co_u32_e32 v65, vcc, 0, v3, vcc
	s_waitcnt lgkmcnt(6)
	global_store_dwordx2 v[64:65], v[32:33], off offset:512
	s_or_b64 exec, exec, s[30:31]
	v_cmp_gt_u32_e32 vcc, s34, v93
	s_and_saveexec_b64 s[30:31], vcc
	s_cbranch_execz .LBB34_59
.LBB34_81:                              ;   in Loop: Header=BB34_14 Depth=1
	s_waitcnt lgkmcnt(6)
	v_add_co_u32_e32 v32, vcc, 0x1000, v2
	s_nop 1
	v_addc_co_u32_e32 v33, vcc, 0, v3, vcc
	s_waitcnt lgkmcnt(5)
	global_store_dwordx2 v[32:33], v[30:31], off offset:1024
	s_or_b64 exec, exec, s[30:31]
	v_cmp_gt_u32_e32 vcc, s34, v94
	s_and_saveexec_b64 s[30:31], vcc
	s_cbranch_execz .LBB34_60
.LBB34_82:                              ;   in Loop: Header=BB34_14 Depth=1
	s_waitcnt lgkmcnt(5)
	v_add_co_u32_e32 v30, vcc, 0x1000, v2
	s_nop 1
	v_addc_co_u32_e32 v31, vcc, 0, v3, vcc
	s_waitcnt lgkmcnt(4)
	global_store_dwordx2 v[30:31], v[28:29], off offset:1536
	s_or_b64 exec, exec, s[30:31]
	v_cmp_gt_u32_e32 vcc, s34, v95
	s_and_saveexec_b64 s[30:31], vcc
	s_cbranch_execz .LBB34_61
.LBB34_83:                              ;   in Loop: Header=BB34_14 Depth=1
	s_waitcnt lgkmcnt(4)
	v_add_co_u32_e32 v28, vcc, 0x1000, v2
	s_nop 1
	v_addc_co_u32_e32 v29, vcc, 0, v3, vcc
	s_waitcnt lgkmcnt(3)
	global_store_dwordx2 v[28:29], v[26:27], off offset:2048
	s_or_b64 exec, exec, s[30:31]
	v_cmp_gt_u32_e32 vcc, s34, v96
	s_and_saveexec_b64 s[30:31], vcc
	s_cbranch_execz .LBB34_62
.LBB34_84:                              ;   in Loop: Header=BB34_14 Depth=1
	s_waitcnt lgkmcnt(3)
	v_add_co_u32_e32 v26, vcc, 0x1000, v2
	s_nop 1
	v_addc_co_u32_e32 v27, vcc, 0, v3, vcc
	s_waitcnt lgkmcnt(2)
	global_store_dwordx2 v[26:27], v[24:25], off offset:2560
	s_or_b64 exec, exec, s[30:31]
	v_cmp_gt_u32_e32 vcc, s34, v97
	s_and_saveexec_b64 s[30:31], vcc
	s_cbranch_execnz .LBB34_63
	s_branch .LBB34_64
.LBB34_85:                              ;   in Loop: Header=BB34_14 Depth=1
	global_load_dwordx2 v[2:3], v[48:49], off
	v_mov_b32_e32 v4, v0
	v_mov_b32_e32 v5, v0
	;; [unrolled: 1-line block ×30, first 2 shown]
	s_or_b64 exec, exec, s[38:39]
	v_cmp_gt_u32_e32 vcc, s34, v84
	s_and_saveexec_b64 s[30:31], vcc
	s_cbranch_execz .LBB34_17
.LBB34_86:                              ;   in Loop: Header=BB34_14 Depth=1
	global_load_dwordx2 v[4:5], v[48:49], off offset:512
	s_or_b64 exec, exec, s[30:31]
	v_cmp_gt_u32_e32 vcc, s34, v85
	s_and_saveexec_b64 s[30:31], vcc
	s_cbranch_execz .LBB34_18
.LBB34_87:                              ;   in Loop: Header=BB34_14 Depth=1
	global_load_dwordx2 v[6:7], v[48:49], off offset:1024
	s_or_b64 exec, exec, s[30:31]
	v_cmp_gt_u32_e32 vcc, s34, v86
	s_and_saveexec_b64 s[30:31], vcc
	s_cbranch_execz .LBB34_19
.LBB34_88:                              ;   in Loop: Header=BB34_14 Depth=1
	global_load_dwordx2 v[8:9], v[48:49], off offset:1536
	s_or_b64 exec, exec, s[30:31]
	v_cmp_gt_u32_e32 vcc, s34, v87
	s_and_saveexec_b64 s[30:31], vcc
	s_cbranch_execz .LBB34_20
.LBB34_89:                              ;   in Loop: Header=BB34_14 Depth=1
	global_load_dwordx2 v[10:11], v[48:49], off offset:2048
	s_or_b64 exec, exec, s[30:31]
	v_cmp_gt_u32_e32 vcc, s34, v88
	s_and_saveexec_b64 s[30:31], vcc
	s_cbranch_execz .LBB34_21
.LBB34_90:                              ;   in Loop: Header=BB34_14 Depth=1
	global_load_dwordx2 v[12:13], v[48:49], off offset:2560
	s_or_b64 exec, exec, s[30:31]
	v_cmp_gt_u32_e32 vcc, s34, v89
	s_and_saveexec_b64 s[30:31], vcc
	s_cbranch_execz .LBB34_22
.LBB34_91:                              ;   in Loop: Header=BB34_14 Depth=1
	global_load_dwordx2 v[14:15], v[48:49], off offset:3072
	s_or_b64 exec, exec, s[30:31]
	v_cmp_gt_u32_e32 vcc, s34, v90
	s_and_saveexec_b64 s[30:31], vcc
	s_cbranch_execz .LBB34_23
.LBB34_92:                              ;   in Loop: Header=BB34_14 Depth=1
	global_load_dwordx2 v[16:17], v[48:49], off offset:3584
	s_or_b64 exec, exec, s[30:31]
	v_cmp_gt_u32_e32 vcc, s34, v91
	s_and_saveexec_b64 s[30:31], vcc
	s_cbranch_execz .LBB34_24
.LBB34_93:                              ;   in Loop: Header=BB34_14 Depth=1
	v_add_co_u32_e32 v18, vcc, 0x1000, v48
	s_nop 1
	v_addc_co_u32_e32 v19, vcc, 0, v49, vcc
	global_load_dwordx2 v[18:19], v[18:19], off
	s_or_b64 exec, exec, s[30:31]
	v_cmp_gt_u32_e32 vcc, s34, v92
	s_and_saveexec_b64 s[30:31], vcc
	s_cbranch_execz .LBB34_25
.LBB34_94:                              ;   in Loop: Header=BB34_14 Depth=1
	v_add_co_u32_e32 v20, vcc, 0x1000, v48
	s_nop 1
	v_addc_co_u32_e32 v21, vcc, 0, v49, vcc
	global_load_dwordx2 v[20:21], v[20:21], off offset:512
	s_or_b64 exec, exec, s[30:31]
	v_cmp_gt_u32_e32 vcc, s34, v93
	s_and_saveexec_b64 s[30:31], vcc
	s_cbranch_execz .LBB34_26
.LBB34_95:                              ;   in Loop: Header=BB34_14 Depth=1
	v_add_co_u32_e32 v22, vcc, 0x1000, v48
	s_nop 1
	v_addc_co_u32_e32 v23, vcc, 0, v49, vcc
	global_load_dwordx2 v[22:23], v[22:23], off offset:1024
	s_or_b64 exec, exec, s[30:31]
	v_cmp_gt_u32_e32 vcc, s34, v94
	s_and_saveexec_b64 s[30:31], vcc
	s_cbranch_execz .LBB34_27
.LBB34_96:                              ;   in Loop: Header=BB34_14 Depth=1
	v_add_co_u32_e32 v24, vcc, 0x1000, v48
	s_nop 1
	v_addc_co_u32_e32 v25, vcc, 0, v49, vcc
	global_load_dwordx2 v[24:25], v[24:25], off offset:1536
	s_or_b64 exec, exec, s[30:31]
	v_cmp_gt_u32_e32 vcc, s34, v95
	s_and_saveexec_b64 s[30:31], vcc
	s_cbranch_execz .LBB34_28
.LBB34_97:                              ;   in Loop: Header=BB34_14 Depth=1
	v_add_co_u32_e32 v26, vcc, 0x1000, v48
	s_nop 1
	v_addc_co_u32_e32 v27, vcc, 0, v49, vcc
	global_load_dwordx2 v[26:27], v[26:27], off offset:2048
	s_or_b64 exec, exec, s[30:31]
	v_cmp_gt_u32_e32 vcc, s34, v96
	s_and_saveexec_b64 s[30:31], vcc
	s_cbranch_execz .LBB34_29
.LBB34_98:                              ;   in Loop: Header=BB34_14 Depth=1
	v_add_co_u32_e32 v28, vcc, 0x1000, v48
	s_nop 1
	v_addc_co_u32_e32 v29, vcc, 0, v49, vcc
	global_load_dwordx2 v[28:29], v[28:29], off offset:2560
	s_or_b64 exec, exec, s[30:31]
	v_cmp_gt_u32_e32 vcc, s34, v97
	s_and_saveexec_b64 s[30:31], vcc
	s_cbranch_execz .LBB34_30
.LBB34_99:                              ;   in Loop: Header=BB34_14 Depth=1
	v_add_co_u32_e32 v30, vcc, 0x1000, v48
	s_nop 1
	v_addc_co_u32_e32 v31, vcc, 0, v49, vcc
	global_load_dwordx2 v[30:31], v[30:31], off offset:3072
	s_or_b64 exec, exec, s[30:31]
	v_cmp_gt_u32_e32 vcc, s34, v98
	s_and_saveexec_b64 s[30:31], vcc
	s_cbranch_execnz .LBB34_31
	s_branch .LBB34_32
.LBB34_100:
	s_endpgm
	.section	.rodata,"a",@progbits
	.p2align	6, 0x0
	.amdhsa_kernel _ZN2at4cuda3cub17final_scan_kernelILi256ELi16ElEEvPKT1_PS3_S6_li
		.amdhsa_group_segment_fixed_size 33792
		.amdhsa_private_segment_fixed_size 0
		.amdhsa_kernarg_size 296
		.amdhsa_user_sgpr_count 2
		.amdhsa_user_sgpr_dispatch_ptr 0
		.amdhsa_user_sgpr_queue_ptr 0
		.amdhsa_user_sgpr_kernarg_segment_ptr 1
		.amdhsa_user_sgpr_dispatch_id 0
		.amdhsa_user_sgpr_kernarg_preload_length 0
		.amdhsa_user_sgpr_kernarg_preload_offset 0
		.amdhsa_user_sgpr_private_segment_size 0
		.amdhsa_uses_dynamic_stack 0
		.amdhsa_enable_private_segment 0
		.amdhsa_system_sgpr_workgroup_id_x 1
		.amdhsa_system_sgpr_workgroup_id_y 0
		.amdhsa_system_sgpr_workgroup_id_z 0
		.amdhsa_system_sgpr_workgroup_info 0
		.amdhsa_system_vgpr_workitem_id 0
		.amdhsa_next_free_vgpr 119
		.amdhsa_next_free_sgpr 44
		.amdhsa_accum_offset 120
		.amdhsa_reserve_vcc 1
		.amdhsa_float_round_mode_32 0
		.amdhsa_float_round_mode_16_64 0
		.amdhsa_float_denorm_mode_32 3
		.amdhsa_float_denorm_mode_16_64 3
		.amdhsa_dx10_clamp 1
		.amdhsa_ieee_mode 1
		.amdhsa_fp16_overflow 0
		.amdhsa_tg_split 0
		.amdhsa_exception_fp_ieee_invalid_op 0
		.amdhsa_exception_fp_denorm_src 0
		.amdhsa_exception_fp_ieee_div_zero 0
		.amdhsa_exception_fp_ieee_overflow 0
		.amdhsa_exception_fp_ieee_underflow 0
		.amdhsa_exception_fp_ieee_inexact 0
		.amdhsa_exception_int_div_zero 0
	.end_amdhsa_kernel
	.section	.text._ZN2at4cuda3cub17final_scan_kernelILi256ELi16ElEEvPKT1_PS3_S6_li,"axG",@progbits,_ZN2at4cuda3cub17final_scan_kernelILi256ELi16ElEEvPKT1_PS3_S6_li,comdat
.Lfunc_end34:
	.size	_ZN2at4cuda3cub17final_scan_kernelILi256ELi16ElEEvPKT1_PS3_S6_li, .Lfunc_end34-_ZN2at4cuda3cub17final_scan_kernelILi256ELi16ElEEvPKT1_PS3_S6_li
                                        ; -- End function
	.set _ZN2at4cuda3cub17final_scan_kernelILi256ELi16ElEEvPKT1_PS3_S6_li.num_vgpr, 119
	.set _ZN2at4cuda3cub17final_scan_kernelILi256ELi16ElEEvPKT1_PS3_S6_li.num_agpr, 0
	.set _ZN2at4cuda3cub17final_scan_kernelILi256ELi16ElEEvPKT1_PS3_S6_li.numbered_sgpr, 44
	.set _ZN2at4cuda3cub17final_scan_kernelILi256ELi16ElEEvPKT1_PS3_S6_li.num_named_barrier, 0
	.set _ZN2at4cuda3cub17final_scan_kernelILi256ELi16ElEEvPKT1_PS3_S6_li.private_seg_size, 0
	.set _ZN2at4cuda3cub17final_scan_kernelILi256ELi16ElEEvPKT1_PS3_S6_li.uses_vcc, 1
	.set _ZN2at4cuda3cub17final_scan_kernelILi256ELi16ElEEvPKT1_PS3_S6_li.uses_flat_scratch, 0
	.set _ZN2at4cuda3cub17final_scan_kernelILi256ELi16ElEEvPKT1_PS3_S6_li.has_dyn_sized_stack, 0
	.set _ZN2at4cuda3cub17final_scan_kernelILi256ELi16ElEEvPKT1_PS3_S6_li.has_recursion, 0
	.set _ZN2at4cuda3cub17final_scan_kernelILi256ELi16ElEEvPKT1_PS3_S6_li.has_indirect_call, 0
	.section	.AMDGPU.csdata,"",@progbits
; Kernel info:
; codeLenInByte = 5440
; TotalNumSgprs: 50
; NumVgprs: 119
; NumAgprs: 0
; TotalNumVgprs: 119
; ScratchSize: 0
; MemoryBound: 1
; FloatMode: 240
; IeeeMode: 1
; LDSByteSize: 33792 bytes/workgroup (compile time only)
; SGPRBlocks: 6
; VGPRBlocks: 14
; NumSGPRsForWavesPerEU: 50
; NumVGPRsForWavesPerEU: 119
; AccumOffset: 120
; Occupancy: 4
; WaveLimiterHint : 1
; COMPUTE_PGM_RSRC2:SCRATCH_EN: 0
; COMPUTE_PGM_RSRC2:USER_SGPR: 2
; COMPUTE_PGM_RSRC2:TRAP_HANDLER: 0
; COMPUTE_PGM_RSRC2:TGID_X_EN: 1
; COMPUTE_PGM_RSRC2:TGID_Y_EN: 0
; COMPUTE_PGM_RSRC2:TGID_Z_EN: 0
; COMPUTE_PGM_RSRC2:TIDIG_COMP_CNT: 0
; COMPUTE_PGM_RSRC3_GFX90A:ACCUM_OFFSET: 29
; COMPUTE_PGM_RSRC3_GFX90A:TG_SPLIT: 0
	.section	.text._ZN7rocprim17ROCPRIM_304000_NS6detail31init_lookback_scan_state_kernelINS1_19lookback_scan_stateIlLb1ELb1EEEEEvT_jjPNS5_10value_typeE,"axG",@progbits,_ZN7rocprim17ROCPRIM_304000_NS6detail31init_lookback_scan_state_kernelINS1_19lookback_scan_stateIlLb1ELb1EEEEEvT_jjPNS5_10value_typeE,comdat
	.protected	_ZN7rocprim17ROCPRIM_304000_NS6detail31init_lookback_scan_state_kernelINS1_19lookback_scan_stateIlLb1ELb1EEEEEvT_jjPNS5_10value_typeE ; -- Begin function _ZN7rocprim17ROCPRIM_304000_NS6detail31init_lookback_scan_state_kernelINS1_19lookback_scan_stateIlLb1ELb1EEEEEvT_jjPNS5_10value_typeE
	.globl	_ZN7rocprim17ROCPRIM_304000_NS6detail31init_lookback_scan_state_kernelINS1_19lookback_scan_stateIlLb1ELb1EEEEEvT_jjPNS5_10value_typeE
	.p2align	8
	.type	_ZN7rocprim17ROCPRIM_304000_NS6detail31init_lookback_scan_state_kernelINS1_19lookback_scan_stateIlLb1ELb1EEEEEvT_jjPNS5_10value_typeE,@function
_ZN7rocprim17ROCPRIM_304000_NS6detail31init_lookback_scan_state_kernelINS1_19lookback_scan_stateIlLb1ELb1EEEEEvT_jjPNS5_10value_typeE: ; @_ZN7rocprim17ROCPRIM_304000_NS6detail31init_lookback_scan_state_kernelINS1_19lookback_scan_stateIlLb1ELb1EEEEEvT_jjPNS5_10value_typeE
; %bb.0:
	s_load_dword s3, s[0:1], 0x24
	s_load_dwordx2 s[8:9], s[0:1], 0x10
	s_load_dwordx4 s[4:7], s[0:1], 0x0
	s_waitcnt lgkmcnt(0)
	s_and_b32 s0, s3, 0xffff
	s_mul_i32 s2, s2, s0
	s_cmp_eq_u64 s[8:9], 0
	v_add_u32_e32 v0, s2, v0
	s_cbranch_scc1 .LBB35_10
; %bb.1:
	s_cmp_lt_u32 s7, s6
	s_cselect_b32 s0, s7, 0
	s_mov_b32 s3, 0
	v_cmp_eq_u32_e32 vcc, s0, v0
	s_and_saveexec_b64 s[0:1], vcc
	s_cbranch_execz .LBB35_9
; %bb.2:
	s_add_i32 s2, s7, 64
	s_lshl_b64 s[2:3], s[2:3], 4
	s_add_u32 s12, s4, s2
	s_addc_u32 s13, s5, s3
	v_mov_b64_e32 v[2:3], s[12:13]
	;;#ASMSTART
	global_load_dwordx4 v[2:5], v[2:3] off sc1	
s_waitcnt vmcnt(0)
	;;#ASMEND
	v_mov_b32_e32 v7, 0
	v_and_b32_e32 v6, 0xff, v4
	s_mov_b64 s[10:11], 0
	v_cmp_eq_u64_e32 vcc, 0, v[6:7]
	s_and_saveexec_b64 s[2:3], vcc
	s_cbranch_execz .LBB35_8
; %bb.3:
	s_mov_b32 s7, 1
	v_mov_b64_e32 v[8:9], s[12:13]
.LBB35_4:                               ; =>This Loop Header: Depth=1
                                        ;     Child Loop BB35_5 Depth 2
	s_mov_b32 s12, s7
.LBB35_5:                               ;   Parent Loop BB35_4 Depth=1
                                        ; =>  This Inner Loop Header: Depth=2
	s_add_i32 s12, s12, -1
	s_cmp_eq_u32 s12, 0
	s_sleep 1
	s_cbranch_scc0 .LBB35_5
; %bb.6:                                ;   in Loop: Header=BB35_4 Depth=1
	s_cmp_lt_u32 s7, 32
	s_cselect_b64 s[12:13], -1, 0
	s_cmp_lg_u64 s[12:13], 0
	;;#ASMSTART
	global_load_dwordx4 v[2:5], v[8:9] off sc1	
s_waitcnt vmcnt(0)
	;;#ASMEND
	s_addc_u32 s7, s7, 0
	v_and_b32_e32 v6, 0xff, v4
	v_cmp_ne_u64_e32 vcc, 0, v[6:7]
	s_or_b64 s[10:11], vcc, s[10:11]
	s_andn2_b64 exec, exec, s[10:11]
	s_cbranch_execnz .LBB35_4
; %bb.7:
	s_or_b64 exec, exec, s[10:11]
.LBB35_8:
	s_or_b64 exec, exec, s[2:3]
	v_mov_b32_e32 v1, 0
	global_store_dwordx2 v1, v[2:3], s[8:9]
.LBB35_9:
	s_or_b64 exec, exec, s[0:1]
.LBB35_10:
	v_cmp_gt_u32_e32 vcc, s6, v0
	s_and_saveexec_b64 s[0:1], vcc
	s_cbranch_execnz .LBB35_13
; %bb.11:
	s_or_b64 exec, exec, s[0:1]
	v_cmp_gt_u32_e32 vcc, 64, v0
	s_and_saveexec_b64 s[0:1], vcc
	s_cbranch_execnz .LBB35_14
.LBB35_12:
	s_endpgm
.LBB35_13:
	v_add_u32_e32 v2, 64, v0
	v_mov_b32_e32 v3, 0
	v_lshl_add_u64 v[6:7], v[2:3], 4, s[4:5]
	v_mov_b32_e32 v2, v3
	v_mov_b32_e32 v4, v3
	;; [unrolled: 1-line block ×3, first 2 shown]
	global_store_dwordx4 v[6:7], v[2:5], off
	s_or_b64 exec, exec, s[0:1]
	v_cmp_gt_u32_e32 vcc, 64, v0
	s_and_saveexec_b64 s[0:1], vcc
	s_cbranch_execz .LBB35_12
.LBB35_14:
	v_mov_b32_e32 v1, 0
	v_lshl_add_u64 v[4:5], v[0:1], 4, s[4:5]
	v_mov_b32_e32 v2, 0xff
	v_mov_b32_e32 v0, v1
	;; [unrolled: 1-line block ×3, first 2 shown]
	global_store_dwordx4 v[4:5], v[0:3], off
	s_endpgm
	.section	.rodata,"a",@progbits
	.p2align	6, 0x0
	.amdhsa_kernel _ZN7rocprim17ROCPRIM_304000_NS6detail31init_lookback_scan_state_kernelINS1_19lookback_scan_stateIlLb1ELb1EEEEEvT_jjPNS5_10value_typeE
		.amdhsa_group_segment_fixed_size 0
		.amdhsa_private_segment_fixed_size 0
		.amdhsa_kernarg_size 280
		.amdhsa_user_sgpr_count 2
		.amdhsa_user_sgpr_dispatch_ptr 0
		.amdhsa_user_sgpr_queue_ptr 0
		.amdhsa_user_sgpr_kernarg_segment_ptr 1
		.amdhsa_user_sgpr_dispatch_id 0
		.amdhsa_user_sgpr_kernarg_preload_length 0
		.amdhsa_user_sgpr_kernarg_preload_offset 0
		.amdhsa_user_sgpr_private_segment_size 0
		.amdhsa_uses_dynamic_stack 0
		.amdhsa_enable_private_segment 0
		.amdhsa_system_sgpr_workgroup_id_x 1
		.amdhsa_system_sgpr_workgroup_id_y 0
		.amdhsa_system_sgpr_workgroup_id_z 0
		.amdhsa_system_sgpr_workgroup_info 0
		.amdhsa_system_vgpr_workitem_id 0
		.amdhsa_next_free_vgpr 10
		.amdhsa_next_free_sgpr 14
		.amdhsa_accum_offset 12
		.amdhsa_reserve_vcc 1
		.amdhsa_float_round_mode_32 0
		.amdhsa_float_round_mode_16_64 0
		.amdhsa_float_denorm_mode_32 3
		.amdhsa_float_denorm_mode_16_64 3
		.amdhsa_dx10_clamp 1
		.amdhsa_ieee_mode 1
		.amdhsa_fp16_overflow 0
		.amdhsa_tg_split 0
		.amdhsa_exception_fp_ieee_invalid_op 0
		.amdhsa_exception_fp_denorm_src 0
		.amdhsa_exception_fp_ieee_div_zero 0
		.amdhsa_exception_fp_ieee_overflow 0
		.amdhsa_exception_fp_ieee_underflow 0
		.amdhsa_exception_fp_ieee_inexact 0
		.amdhsa_exception_int_div_zero 0
	.end_amdhsa_kernel
	.section	.text._ZN7rocprim17ROCPRIM_304000_NS6detail31init_lookback_scan_state_kernelINS1_19lookback_scan_stateIlLb1ELb1EEEEEvT_jjPNS5_10value_typeE,"axG",@progbits,_ZN7rocprim17ROCPRIM_304000_NS6detail31init_lookback_scan_state_kernelINS1_19lookback_scan_stateIlLb1ELb1EEEEEvT_jjPNS5_10value_typeE,comdat
.Lfunc_end35:
	.size	_ZN7rocprim17ROCPRIM_304000_NS6detail31init_lookback_scan_state_kernelINS1_19lookback_scan_stateIlLb1ELb1EEEEEvT_jjPNS5_10value_typeE, .Lfunc_end35-_ZN7rocprim17ROCPRIM_304000_NS6detail31init_lookback_scan_state_kernelINS1_19lookback_scan_stateIlLb1ELb1EEEEEvT_jjPNS5_10value_typeE
                                        ; -- End function
	.set _ZN7rocprim17ROCPRIM_304000_NS6detail31init_lookback_scan_state_kernelINS1_19lookback_scan_stateIlLb1ELb1EEEEEvT_jjPNS5_10value_typeE.num_vgpr, 10
	.set _ZN7rocprim17ROCPRIM_304000_NS6detail31init_lookback_scan_state_kernelINS1_19lookback_scan_stateIlLb1ELb1EEEEEvT_jjPNS5_10value_typeE.num_agpr, 0
	.set _ZN7rocprim17ROCPRIM_304000_NS6detail31init_lookback_scan_state_kernelINS1_19lookback_scan_stateIlLb1ELb1EEEEEvT_jjPNS5_10value_typeE.numbered_sgpr, 14
	.set _ZN7rocprim17ROCPRIM_304000_NS6detail31init_lookback_scan_state_kernelINS1_19lookback_scan_stateIlLb1ELb1EEEEEvT_jjPNS5_10value_typeE.num_named_barrier, 0
	.set _ZN7rocprim17ROCPRIM_304000_NS6detail31init_lookback_scan_state_kernelINS1_19lookback_scan_stateIlLb1ELb1EEEEEvT_jjPNS5_10value_typeE.private_seg_size, 0
	.set _ZN7rocprim17ROCPRIM_304000_NS6detail31init_lookback_scan_state_kernelINS1_19lookback_scan_stateIlLb1ELb1EEEEEvT_jjPNS5_10value_typeE.uses_vcc, 1
	.set _ZN7rocprim17ROCPRIM_304000_NS6detail31init_lookback_scan_state_kernelINS1_19lookback_scan_stateIlLb1ELb1EEEEEvT_jjPNS5_10value_typeE.uses_flat_scratch, 0
	.set _ZN7rocprim17ROCPRIM_304000_NS6detail31init_lookback_scan_state_kernelINS1_19lookback_scan_stateIlLb1ELb1EEEEEvT_jjPNS5_10value_typeE.has_dyn_sized_stack, 0
	.set _ZN7rocprim17ROCPRIM_304000_NS6detail31init_lookback_scan_state_kernelINS1_19lookback_scan_stateIlLb1ELb1EEEEEvT_jjPNS5_10value_typeE.has_recursion, 0
	.set _ZN7rocprim17ROCPRIM_304000_NS6detail31init_lookback_scan_state_kernelINS1_19lookback_scan_stateIlLb1ELb1EEEEEvT_jjPNS5_10value_typeE.has_indirect_call, 0
	.section	.AMDGPU.csdata,"",@progbits
; Kernel info:
; codeLenInByte = 404
; TotalNumSgprs: 20
; NumVgprs: 10
; NumAgprs: 0
; TotalNumVgprs: 10
; ScratchSize: 0
; MemoryBound: 0
; FloatMode: 240
; IeeeMode: 1
; LDSByteSize: 0 bytes/workgroup (compile time only)
; SGPRBlocks: 2
; VGPRBlocks: 1
; NumSGPRsForWavesPerEU: 20
; NumVGPRsForWavesPerEU: 10
; AccumOffset: 12
; Occupancy: 8
; WaveLimiterHint : 0
; COMPUTE_PGM_RSRC2:SCRATCH_EN: 0
; COMPUTE_PGM_RSRC2:USER_SGPR: 2
; COMPUTE_PGM_RSRC2:TRAP_HANDLER: 0
; COMPUTE_PGM_RSRC2:TGID_X_EN: 1
; COMPUTE_PGM_RSRC2:TGID_Y_EN: 0
; COMPUTE_PGM_RSRC2:TGID_Z_EN: 0
; COMPUTE_PGM_RSRC2:TIDIG_COMP_CNT: 0
; COMPUTE_PGM_RSRC3_GFX90A:ACCUM_OFFSET: 2
; COMPUTE_PGM_RSRC3_GFX90A:TG_SPLIT: 0
	.section	.text._ZN7rocprim17ROCPRIM_304000_NS6detail31init_lookback_scan_state_kernelINS1_19lookback_scan_stateIlLb0ELb1EEEEEvT_jjPNS5_10value_typeE,"axG",@progbits,_ZN7rocprim17ROCPRIM_304000_NS6detail31init_lookback_scan_state_kernelINS1_19lookback_scan_stateIlLb0ELb1EEEEEvT_jjPNS5_10value_typeE,comdat
	.protected	_ZN7rocprim17ROCPRIM_304000_NS6detail31init_lookback_scan_state_kernelINS1_19lookback_scan_stateIlLb0ELb1EEEEEvT_jjPNS5_10value_typeE ; -- Begin function _ZN7rocprim17ROCPRIM_304000_NS6detail31init_lookback_scan_state_kernelINS1_19lookback_scan_stateIlLb0ELb1EEEEEvT_jjPNS5_10value_typeE
	.globl	_ZN7rocprim17ROCPRIM_304000_NS6detail31init_lookback_scan_state_kernelINS1_19lookback_scan_stateIlLb0ELb1EEEEEvT_jjPNS5_10value_typeE
	.p2align	8
	.type	_ZN7rocprim17ROCPRIM_304000_NS6detail31init_lookback_scan_state_kernelINS1_19lookback_scan_stateIlLb0ELb1EEEEEvT_jjPNS5_10value_typeE,@function
_ZN7rocprim17ROCPRIM_304000_NS6detail31init_lookback_scan_state_kernelINS1_19lookback_scan_stateIlLb0ELb1EEEEEvT_jjPNS5_10value_typeE: ; @_ZN7rocprim17ROCPRIM_304000_NS6detail31init_lookback_scan_state_kernelINS1_19lookback_scan_stateIlLb0ELb1EEEEEvT_jjPNS5_10value_typeE
; %bb.0:
	s_load_dword s3, s[0:1], 0x24
	s_load_dwordx2 s[8:9], s[0:1], 0x10
	s_load_dwordx4 s[4:7], s[0:1], 0x0
	s_waitcnt lgkmcnt(0)
	s_and_b32 s0, s3, 0xffff
	s_mul_i32 s2, s2, s0
	s_cmp_eq_u64 s[8:9], 0
	v_add_u32_e32 v0, s2, v0
	s_cbranch_scc1 .LBB36_8
; %bb.1:
	s_cmp_lt_u32 s7, s6
	s_cselect_b32 s0, s7, 0
	s_mov_b32 s3, 0
	v_cmp_eq_u32_e32 vcc, s0, v0
	s_and_saveexec_b64 s[0:1], vcc
	s_cbranch_execz .LBB36_7
; %bb.2:
	s_add_i32 s2, s7, 64
	s_lshl_b64 s[2:3], s[2:3], 4
	s_add_u32 s12, s4, s2
	s_addc_u32 s13, s5, s3
	v_mov_b64_e32 v[2:3], s[12:13]
	;;#ASMSTART
	global_load_dwordx4 v[2:5], v[2:3] off sc1	
s_waitcnt vmcnt(0)
	;;#ASMEND
	v_mov_b32_e32 v7, 0
	v_and_b32_e32 v6, 0xff, v4
	s_mov_b64 s[10:11], 0
	v_cmp_eq_u64_e32 vcc, 0, v[6:7]
	s_and_saveexec_b64 s[2:3], vcc
	s_cbranch_execz .LBB36_6
; %bb.3:
	v_mov_b64_e32 v[8:9], s[12:13]
.LBB36_4:                               ; =>This Inner Loop Header: Depth=1
	;;#ASMSTART
	global_load_dwordx4 v[2:5], v[8:9] off sc1	
s_waitcnt vmcnt(0)
	;;#ASMEND
	s_nop 0
	v_and_b32_e32 v6, 0xff, v4
	v_cmp_ne_u64_e32 vcc, 0, v[6:7]
	s_or_b64 s[10:11], vcc, s[10:11]
	s_andn2_b64 exec, exec, s[10:11]
	s_cbranch_execnz .LBB36_4
; %bb.5:
	s_or_b64 exec, exec, s[10:11]
.LBB36_6:
	s_or_b64 exec, exec, s[2:3]
	v_mov_b32_e32 v1, 0
	global_store_dwordx2 v1, v[2:3], s[8:9]
.LBB36_7:
	s_or_b64 exec, exec, s[0:1]
.LBB36_8:
	v_cmp_gt_u32_e32 vcc, s6, v0
	s_and_saveexec_b64 s[0:1], vcc
	s_cbranch_execnz .LBB36_11
; %bb.9:
	s_or_b64 exec, exec, s[0:1]
	v_cmp_gt_u32_e32 vcc, 64, v0
	s_and_saveexec_b64 s[0:1], vcc
	s_cbranch_execnz .LBB36_12
.LBB36_10:
	s_endpgm
.LBB36_11:
	v_add_u32_e32 v2, 64, v0
	v_mov_b32_e32 v3, 0
	v_lshl_add_u64 v[6:7], v[2:3], 4, s[4:5]
	v_mov_b32_e32 v2, v3
	v_mov_b32_e32 v4, v3
	;; [unrolled: 1-line block ×3, first 2 shown]
	global_store_dwordx4 v[6:7], v[2:5], off
	s_or_b64 exec, exec, s[0:1]
	v_cmp_gt_u32_e32 vcc, 64, v0
	s_and_saveexec_b64 s[0:1], vcc
	s_cbranch_execz .LBB36_10
.LBB36_12:
	v_mov_b32_e32 v1, 0
	v_lshl_add_u64 v[4:5], v[0:1], 4, s[4:5]
	v_mov_b32_e32 v2, 0xff
	v_mov_b32_e32 v0, v1
	;; [unrolled: 1-line block ×3, first 2 shown]
	global_store_dwordx4 v[4:5], v[0:3], off
	s_endpgm
	.section	.rodata,"a",@progbits
	.p2align	6, 0x0
	.amdhsa_kernel _ZN7rocprim17ROCPRIM_304000_NS6detail31init_lookback_scan_state_kernelINS1_19lookback_scan_stateIlLb0ELb1EEEEEvT_jjPNS5_10value_typeE
		.amdhsa_group_segment_fixed_size 0
		.amdhsa_private_segment_fixed_size 0
		.amdhsa_kernarg_size 280
		.amdhsa_user_sgpr_count 2
		.amdhsa_user_sgpr_dispatch_ptr 0
		.amdhsa_user_sgpr_queue_ptr 0
		.amdhsa_user_sgpr_kernarg_segment_ptr 1
		.amdhsa_user_sgpr_dispatch_id 0
		.amdhsa_user_sgpr_kernarg_preload_length 0
		.amdhsa_user_sgpr_kernarg_preload_offset 0
		.amdhsa_user_sgpr_private_segment_size 0
		.amdhsa_uses_dynamic_stack 0
		.amdhsa_enable_private_segment 0
		.amdhsa_system_sgpr_workgroup_id_x 1
		.amdhsa_system_sgpr_workgroup_id_y 0
		.amdhsa_system_sgpr_workgroup_id_z 0
		.amdhsa_system_sgpr_workgroup_info 0
		.amdhsa_system_vgpr_workitem_id 0
		.amdhsa_next_free_vgpr 10
		.amdhsa_next_free_sgpr 14
		.amdhsa_accum_offset 12
		.amdhsa_reserve_vcc 1
		.amdhsa_float_round_mode_32 0
		.amdhsa_float_round_mode_16_64 0
		.amdhsa_float_denorm_mode_32 3
		.amdhsa_float_denorm_mode_16_64 3
		.amdhsa_dx10_clamp 1
		.amdhsa_ieee_mode 1
		.amdhsa_fp16_overflow 0
		.amdhsa_tg_split 0
		.amdhsa_exception_fp_ieee_invalid_op 0
		.amdhsa_exception_fp_denorm_src 0
		.amdhsa_exception_fp_ieee_div_zero 0
		.amdhsa_exception_fp_ieee_overflow 0
		.amdhsa_exception_fp_ieee_underflow 0
		.amdhsa_exception_fp_ieee_inexact 0
		.amdhsa_exception_int_div_zero 0
	.end_amdhsa_kernel
	.section	.text._ZN7rocprim17ROCPRIM_304000_NS6detail31init_lookback_scan_state_kernelINS1_19lookback_scan_stateIlLb0ELb1EEEEEvT_jjPNS5_10value_typeE,"axG",@progbits,_ZN7rocprim17ROCPRIM_304000_NS6detail31init_lookback_scan_state_kernelINS1_19lookback_scan_stateIlLb0ELb1EEEEEvT_jjPNS5_10value_typeE,comdat
.Lfunc_end36:
	.size	_ZN7rocprim17ROCPRIM_304000_NS6detail31init_lookback_scan_state_kernelINS1_19lookback_scan_stateIlLb0ELb1EEEEEvT_jjPNS5_10value_typeE, .Lfunc_end36-_ZN7rocprim17ROCPRIM_304000_NS6detail31init_lookback_scan_state_kernelINS1_19lookback_scan_stateIlLb0ELb1EEEEEvT_jjPNS5_10value_typeE
                                        ; -- End function
	.set _ZN7rocprim17ROCPRIM_304000_NS6detail31init_lookback_scan_state_kernelINS1_19lookback_scan_stateIlLb0ELb1EEEEEvT_jjPNS5_10value_typeE.num_vgpr, 10
	.set _ZN7rocprim17ROCPRIM_304000_NS6detail31init_lookback_scan_state_kernelINS1_19lookback_scan_stateIlLb0ELb1EEEEEvT_jjPNS5_10value_typeE.num_agpr, 0
	.set _ZN7rocprim17ROCPRIM_304000_NS6detail31init_lookback_scan_state_kernelINS1_19lookback_scan_stateIlLb0ELb1EEEEEvT_jjPNS5_10value_typeE.numbered_sgpr, 14
	.set _ZN7rocprim17ROCPRIM_304000_NS6detail31init_lookback_scan_state_kernelINS1_19lookback_scan_stateIlLb0ELb1EEEEEvT_jjPNS5_10value_typeE.num_named_barrier, 0
	.set _ZN7rocprim17ROCPRIM_304000_NS6detail31init_lookback_scan_state_kernelINS1_19lookback_scan_stateIlLb0ELb1EEEEEvT_jjPNS5_10value_typeE.private_seg_size, 0
	.set _ZN7rocprim17ROCPRIM_304000_NS6detail31init_lookback_scan_state_kernelINS1_19lookback_scan_stateIlLb0ELb1EEEEEvT_jjPNS5_10value_typeE.uses_vcc, 1
	.set _ZN7rocprim17ROCPRIM_304000_NS6detail31init_lookback_scan_state_kernelINS1_19lookback_scan_stateIlLb0ELb1EEEEEvT_jjPNS5_10value_typeE.uses_flat_scratch, 0
	.set _ZN7rocprim17ROCPRIM_304000_NS6detail31init_lookback_scan_state_kernelINS1_19lookback_scan_stateIlLb0ELb1EEEEEvT_jjPNS5_10value_typeE.has_dyn_sized_stack, 0
	.set _ZN7rocprim17ROCPRIM_304000_NS6detail31init_lookback_scan_state_kernelINS1_19lookback_scan_stateIlLb0ELb1EEEEEvT_jjPNS5_10value_typeE.has_recursion, 0
	.set _ZN7rocprim17ROCPRIM_304000_NS6detail31init_lookback_scan_state_kernelINS1_19lookback_scan_stateIlLb0ELb1EEEEEvT_jjPNS5_10value_typeE.has_indirect_call, 0
	.section	.AMDGPU.csdata,"",@progbits
; Kernel info:
; codeLenInByte = 368
; TotalNumSgprs: 20
; NumVgprs: 10
; NumAgprs: 0
; TotalNumVgprs: 10
; ScratchSize: 0
; MemoryBound: 0
; FloatMode: 240
; IeeeMode: 1
; LDSByteSize: 0 bytes/workgroup (compile time only)
; SGPRBlocks: 2
; VGPRBlocks: 1
; NumSGPRsForWavesPerEU: 20
; NumVGPRsForWavesPerEU: 10
; AccumOffset: 12
; Occupancy: 8
; WaveLimiterHint : 0
; COMPUTE_PGM_RSRC2:SCRATCH_EN: 0
; COMPUTE_PGM_RSRC2:USER_SGPR: 2
; COMPUTE_PGM_RSRC2:TRAP_HANDLER: 0
; COMPUTE_PGM_RSRC2:TGID_X_EN: 1
; COMPUTE_PGM_RSRC2:TGID_Y_EN: 0
; COMPUTE_PGM_RSRC2:TGID_Z_EN: 0
; COMPUTE_PGM_RSRC2:TIDIG_COMP_CNT: 0
; COMPUTE_PGM_RSRC3_GFX90A:ACCUM_OFFSET: 2
; COMPUTE_PGM_RSRC3_GFX90A:TG_SPLIT: 0
	.section	.text._ZN7rocprim17ROCPRIM_304000_NS6detail20lookback_scan_kernelILNS1_25lookback_scan_determinismE0ELb0ENS1_19wrapped_scan_configINS0_14default_configElEEPKlPlSt4plusIlEllNS1_19lookback_scan_stateIlLb1ELb1EEEEEvT2_T3_mT5_T4_T7_jPT6_SK_bb,"axG",@progbits,_ZN7rocprim17ROCPRIM_304000_NS6detail20lookback_scan_kernelILNS1_25lookback_scan_determinismE0ELb0ENS1_19wrapped_scan_configINS0_14default_configElEEPKlPlSt4plusIlEllNS1_19lookback_scan_stateIlLb1ELb1EEEEEvT2_T3_mT5_T4_T7_jPT6_SK_bb,comdat
	.protected	_ZN7rocprim17ROCPRIM_304000_NS6detail20lookback_scan_kernelILNS1_25lookback_scan_determinismE0ELb0ENS1_19wrapped_scan_configINS0_14default_configElEEPKlPlSt4plusIlEllNS1_19lookback_scan_stateIlLb1ELb1EEEEEvT2_T3_mT5_T4_T7_jPT6_SK_bb ; -- Begin function _ZN7rocprim17ROCPRIM_304000_NS6detail20lookback_scan_kernelILNS1_25lookback_scan_determinismE0ELb0ENS1_19wrapped_scan_configINS0_14default_configElEEPKlPlSt4plusIlEllNS1_19lookback_scan_stateIlLb1ELb1EEEEEvT2_T3_mT5_T4_T7_jPT6_SK_bb
	.globl	_ZN7rocprim17ROCPRIM_304000_NS6detail20lookback_scan_kernelILNS1_25lookback_scan_determinismE0ELb0ENS1_19wrapped_scan_configINS0_14default_configElEEPKlPlSt4plusIlEllNS1_19lookback_scan_stateIlLb1ELb1EEEEEvT2_T3_mT5_T4_T7_jPT6_SK_bb
	.p2align	8
	.type	_ZN7rocprim17ROCPRIM_304000_NS6detail20lookback_scan_kernelILNS1_25lookback_scan_determinismE0ELb0ENS1_19wrapped_scan_configINS0_14default_configElEEPKlPlSt4plusIlEllNS1_19lookback_scan_stateIlLb1ELb1EEEEEvT2_T3_mT5_T4_T7_jPT6_SK_bb,@function
_ZN7rocprim17ROCPRIM_304000_NS6detail20lookback_scan_kernelILNS1_25lookback_scan_determinismE0ELb0ENS1_19wrapped_scan_configINS0_14default_configElEEPKlPlSt4plusIlEllNS1_19lookback_scan_stateIlLb1ELb1EEEEEvT2_T3_mT5_T4_T7_jPT6_SK_bb: ; @_ZN7rocprim17ROCPRIM_304000_NS6detail20lookback_scan_kernelILNS1_25lookback_scan_determinismE0ELb0ENS1_19wrapped_scan_configINS0_14default_configElEEPKlPlSt4plusIlEllNS1_19lookback_scan_stateIlLb1ELb1EEEEEvT2_T3_mT5_T4_T7_jPT6_SK_bb
; %bb.0:
	s_endpgm
	.section	.rodata,"a",@progbits
	.p2align	6, 0x0
	.amdhsa_kernel _ZN7rocprim17ROCPRIM_304000_NS6detail20lookback_scan_kernelILNS1_25lookback_scan_determinismE0ELb0ENS1_19wrapped_scan_configINS0_14default_configElEEPKlPlSt4plusIlEllNS1_19lookback_scan_stateIlLb1ELb1EEEEEvT2_T3_mT5_T4_T7_jPT6_SK_bb
		.amdhsa_group_segment_fixed_size 0
		.amdhsa_private_segment_fixed_size 0
		.amdhsa_kernarg_size 76
		.amdhsa_user_sgpr_count 2
		.amdhsa_user_sgpr_dispatch_ptr 0
		.amdhsa_user_sgpr_queue_ptr 0
		.amdhsa_user_sgpr_kernarg_segment_ptr 1
		.amdhsa_user_sgpr_dispatch_id 0
		.amdhsa_user_sgpr_kernarg_preload_length 0
		.amdhsa_user_sgpr_kernarg_preload_offset 0
		.amdhsa_user_sgpr_private_segment_size 0
		.amdhsa_uses_dynamic_stack 0
		.amdhsa_enable_private_segment 0
		.amdhsa_system_sgpr_workgroup_id_x 1
		.amdhsa_system_sgpr_workgroup_id_y 0
		.amdhsa_system_sgpr_workgroup_id_z 0
		.amdhsa_system_sgpr_workgroup_info 0
		.amdhsa_system_vgpr_workitem_id 0
		.amdhsa_next_free_vgpr 1
		.amdhsa_next_free_sgpr 0
		.amdhsa_accum_offset 4
		.amdhsa_reserve_vcc 0
		.amdhsa_float_round_mode_32 0
		.amdhsa_float_round_mode_16_64 0
		.amdhsa_float_denorm_mode_32 3
		.amdhsa_float_denorm_mode_16_64 3
		.amdhsa_dx10_clamp 1
		.amdhsa_ieee_mode 1
		.amdhsa_fp16_overflow 0
		.amdhsa_tg_split 0
		.amdhsa_exception_fp_ieee_invalid_op 0
		.amdhsa_exception_fp_denorm_src 0
		.amdhsa_exception_fp_ieee_div_zero 0
		.amdhsa_exception_fp_ieee_overflow 0
		.amdhsa_exception_fp_ieee_underflow 0
		.amdhsa_exception_fp_ieee_inexact 0
		.amdhsa_exception_int_div_zero 0
	.end_amdhsa_kernel
	.section	.text._ZN7rocprim17ROCPRIM_304000_NS6detail20lookback_scan_kernelILNS1_25lookback_scan_determinismE0ELb0ENS1_19wrapped_scan_configINS0_14default_configElEEPKlPlSt4plusIlEllNS1_19lookback_scan_stateIlLb1ELb1EEEEEvT2_T3_mT5_T4_T7_jPT6_SK_bb,"axG",@progbits,_ZN7rocprim17ROCPRIM_304000_NS6detail20lookback_scan_kernelILNS1_25lookback_scan_determinismE0ELb0ENS1_19wrapped_scan_configINS0_14default_configElEEPKlPlSt4plusIlEllNS1_19lookback_scan_stateIlLb1ELb1EEEEEvT2_T3_mT5_T4_T7_jPT6_SK_bb,comdat
.Lfunc_end37:
	.size	_ZN7rocprim17ROCPRIM_304000_NS6detail20lookback_scan_kernelILNS1_25lookback_scan_determinismE0ELb0ENS1_19wrapped_scan_configINS0_14default_configElEEPKlPlSt4plusIlEllNS1_19lookback_scan_stateIlLb1ELb1EEEEEvT2_T3_mT5_T4_T7_jPT6_SK_bb, .Lfunc_end37-_ZN7rocprim17ROCPRIM_304000_NS6detail20lookback_scan_kernelILNS1_25lookback_scan_determinismE0ELb0ENS1_19wrapped_scan_configINS0_14default_configElEEPKlPlSt4plusIlEllNS1_19lookback_scan_stateIlLb1ELb1EEEEEvT2_T3_mT5_T4_T7_jPT6_SK_bb
                                        ; -- End function
	.set _ZN7rocprim17ROCPRIM_304000_NS6detail20lookback_scan_kernelILNS1_25lookback_scan_determinismE0ELb0ENS1_19wrapped_scan_configINS0_14default_configElEEPKlPlSt4plusIlEllNS1_19lookback_scan_stateIlLb1ELb1EEEEEvT2_T3_mT5_T4_T7_jPT6_SK_bb.num_vgpr, 0
	.set _ZN7rocprim17ROCPRIM_304000_NS6detail20lookback_scan_kernelILNS1_25lookback_scan_determinismE0ELb0ENS1_19wrapped_scan_configINS0_14default_configElEEPKlPlSt4plusIlEllNS1_19lookback_scan_stateIlLb1ELb1EEEEEvT2_T3_mT5_T4_T7_jPT6_SK_bb.num_agpr, 0
	.set _ZN7rocprim17ROCPRIM_304000_NS6detail20lookback_scan_kernelILNS1_25lookback_scan_determinismE0ELb0ENS1_19wrapped_scan_configINS0_14default_configElEEPKlPlSt4plusIlEllNS1_19lookback_scan_stateIlLb1ELb1EEEEEvT2_T3_mT5_T4_T7_jPT6_SK_bb.numbered_sgpr, 0
	.set _ZN7rocprim17ROCPRIM_304000_NS6detail20lookback_scan_kernelILNS1_25lookback_scan_determinismE0ELb0ENS1_19wrapped_scan_configINS0_14default_configElEEPKlPlSt4plusIlEllNS1_19lookback_scan_stateIlLb1ELb1EEEEEvT2_T3_mT5_T4_T7_jPT6_SK_bb.num_named_barrier, 0
	.set _ZN7rocprim17ROCPRIM_304000_NS6detail20lookback_scan_kernelILNS1_25lookback_scan_determinismE0ELb0ENS1_19wrapped_scan_configINS0_14default_configElEEPKlPlSt4plusIlEllNS1_19lookback_scan_stateIlLb1ELb1EEEEEvT2_T3_mT5_T4_T7_jPT6_SK_bb.private_seg_size, 0
	.set _ZN7rocprim17ROCPRIM_304000_NS6detail20lookback_scan_kernelILNS1_25lookback_scan_determinismE0ELb0ENS1_19wrapped_scan_configINS0_14default_configElEEPKlPlSt4plusIlEllNS1_19lookback_scan_stateIlLb1ELb1EEEEEvT2_T3_mT5_T4_T7_jPT6_SK_bb.uses_vcc, 0
	.set _ZN7rocprim17ROCPRIM_304000_NS6detail20lookback_scan_kernelILNS1_25lookback_scan_determinismE0ELb0ENS1_19wrapped_scan_configINS0_14default_configElEEPKlPlSt4plusIlEllNS1_19lookback_scan_stateIlLb1ELb1EEEEEvT2_T3_mT5_T4_T7_jPT6_SK_bb.uses_flat_scratch, 0
	.set _ZN7rocprim17ROCPRIM_304000_NS6detail20lookback_scan_kernelILNS1_25lookback_scan_determinismE0ELb0ENS1_19wrapped_scan_configINS0_14default_configElEEPKlPlSt4plusIlEllNS1_19lookback_scan_stateIlLb1ELb1EEEEEvT2_T3_mT5_T4_T7_jPT6_SK_bb.has_dyn_sized_stack, 0
	.set _ZN7rocprim17ROCPRIM_304000_NS6detail20lookback_scan_kernelILNS1_25lookback_scan_determinismE0ELb0ENS1_19wrapped_scan_configINS0_14default_configElEEPKlPlSt4plusIlEllNS1_19lookback_scan_stateIlLb1ELb1EEEEEvT2_T3_mT5_T4_T7_jPT6_SK_bb.has_recursion, 0
	.set _ZN7rocprim17ROCPRIM_304000_NS6detail20lookback_scan_kernelILNS1_25lookback_scan_determinismE0ELb0ENS1_19wrapped_scan_configINS0_14default_configElEEPKlPlSt4plusIlEllNS1_19lookback_scan_stateIlLb1ELb1EEEEEvT2_T3_mT5_T4_T7_jPT6_SK_bb.has_indirect_call, 0
	.section	.AMDGPU.csdata,"",@progbits
; Kernel info:
; codeLenInByte = 4
; TotalNumSgprs: 6
; NumVgprs: 0
; NumAgprs: 0
; TotalNumVgprs: 0
; ScratchSize: 0
; MemoryBound: 0
; FloatMode: 240
; IeeeMode: 1
; LDSByteSize: 0 bytes/workgroup (compile time only)
; SGPRBlocks: 0
; VGPRBlocks: 0
; NumSGPRsForWavesPerEU: 6
; NumVGPRsForWavesPerEU: 1
; AccumOffset: 4
; Occupancy: 8
; WaveLimiterHint : 0
; COMPUTE_PGM_RSRC2:SCRATCH_EN: 0
; COMPUTE_PGM_RSRC2:USER_SGPR: 2
; COMPUTE_PGM_RSRC2:TRAP_HANDLER: 0
; COMPUTE_PGM_RSRC2:TGID_X_EN: 1
; COMPUTE_PGM_RSRC2:TGID_Y_EN: 0
; COMPUTE_PGM_RSRC2:TGID_Z_EN: 0
; COMPUTE_PGM_RSRC2:TIDIG_COMP_CNT: 0
; COMPUTE_PGM_RSRC3_GFX90A:ACCUM_OFFSET: 0
; COMPUTE_PGM_RSRC3_GFX90A:TG_SPLIT: 0
	.section	.text._ZN7rocprim17ROCPRIM_304000_NS6detail20lookback_scan_kernelILNS1_25lookback_scan_determinismE0ELb0ENS1_19wrapped_scan_configINS0_14default_configElEEPKlPlSt4plusIlEllNS1_19lookback_scan_stateIlLb0ELb1EEEEEvT2_T3_mT5_T4_T7_jPT6_SK_bb,"axG",@progbits,_ZN7rocprim17ROCPRIM_304000_NS6detail20lookback_scan_kernelILNS1_25lookback_scan_determinismE0ELb0ENS1_19wrapped_scan_configINS0_14default_configElEEPKlPlSt4plusIlEllNS1_19lookback_scan_stateIlLb0ELb1EEEEEvT2_T3_mT5_T4_T7_jPT6_SK_bb,comdat
	.protected	_ZN7rocprim17ROCPRIM_304000_NS6detail20lookback_scan_kernelILNS1_25lookback_scan_determinismE0ELb0ENS1_19wrapped_scan_configINS0_14default_configElEEPKlPlSt4plusIlEllNS1_19lookback_scan_stateIlLb0ELb1EEEEEvT2_T3_mT5_T4_T7_jPT6_SK_bb ; -- Begin function _ZN7rocprim17ROCPRIM_304000_NS6detail20lookback_scan_kernelILNS1_25lookback_scan_determinismE0ELb0ENS1_19wrapped_scan_configINS0_14default_configElEEPKlPlSt4plusIlEllNS1_19lookback_scan_stateIlLb0ELb1EEEEEvT2_T3_mT5_T4_T7_jPT6_SK_bb
	.globl	_ZN7rocprim17ROCPRIM_304000_NS6detail20lookback_scan_kernelILNS1_25lookback_scan_determinismE0ELb0ENS1_19wrapped_scan_configINS0_14default_configElEEPKlPlSt4plusIlEllNS1_19lookback_scan_stateIlLb0ELb1EEEEEvT2_T3_mT5_T4_T7_jPT6_SK_bb
	.p2align	8
	.type	_ZN7rocprim17ROCPRIM_304000_NS6detail20lookback_scan_kernelILNS1_25lookback_scan_determinismE0ELb0ENS1_19wrapped_scan_configINS0_14default_configElEEPKlPlSt4plusIlEllNS1_19lookback_scan_stateIlLb0ELb1EEEEEvT2_T3_mT5_T4_T7_jPT6_SK_bb,@function
_ZN7rocprim17ROCPRIM_304000_NS6detail20lookback_scan_kernelILNS1_25lookback_scan_determinismE0ELb0ENS1_19wrapped_scan_configINS0_14default_configElEEPKlPlSt4plusIlEllNS1_19lookback_scan_stateIlLb0ELb1EEEEEvT2_T3_mT5_T4_T7_jPT6_SK_bb: ; @_ZN7rocprim17ROCPRIM_304000_NS6detail20lookback_scan_kernelILNS1_25lookback_scan_determinismE0ELb0ENS1_19wrapped_scan_configINS0_14default_configElEEPKlPlSt4plusIlEllNS1_19lookback_scan_stateIlLb0ELb1EEEEEvT2_T3_mT5_T4_T7_jPT6_SK_bb
; %bb.0:
	s_load_dword s3, s[0:1], 0x30
	s_load_dwordx4 s[20:23], s[0:1], 0x0
	s_load_dwordx2 s[4:5], s[0:1], 0x10
	s_mul_i32 s6, s2, 0x600
	s_mov_b32 s7, 0
	s_waitcnt lgkmcnt(0)
	s_add_i32 s3, s3, -1
	s_mul_i32 s8, s3, 0x600
	s_sub_u32 s28, s4, s8
	s_subb_u32 s29, s5, 0
	s_cmp_lg_u32 s2, s3
	s_cselect_b64 s[24:25], -1, 0
	s_lshl_b64 s[26:27], s[6:7], 3
	s_add_u32 s6, s20, s26
	s_addc_u32 s7, s21, s27
	s_mov_b64 s[4:5], -1
	s_and_b64 vcc, exec, s[24:25]
	v_lshlrev_b32_e32 v26, 3, v0
	s_cbranch_vccz .LBB38_2
; %bb.1:
	v_mov_b32_e32 v27, 0
	v_lshl_add_u64 v[2:3], s[6:7], 0, v[26:27]
	v_add_co_u32_e32 v8, vcc, 0x1000, v2
	global_load_dwordx2 v[4:5], v26, s[6:7]
	global_load_dwordx2 v[6:7], v26, s[6:7] offset:2048
	v_addc_co_u32_e32 v9, vcc, 0, v3, vcc
	v_add_co_u32_e32 v2, vcc, 0x2000, v2
	s_mov_b64 s[4:5], 0
	s_nop 0
	v_addc_co_u32_e32 v3, vcc, 0, v3, vcc
	global_load_dwordx2 v[10:11], v[8:9], off
	global_load_dwordx2 v[12:13], v[8:9], off offset:2048
	global_load_dwordx2 v[14:15], v[2:3], off
	global_load_dwordx2 v[16:17], v[2:3], off offset:2048
	s_waitcnt vmcnt(4)
	ds_write2st64_b64 v26, v[4:5], v[6:7] offset1:4
	s_waitcnt vmcnt(2)
	ds_write2st64_b64 v26, v[10:11], v[12:13] offset0:8 offset1:12
	s_waitcnt vmcnt(0)
	ds_write2st64_b64 v26, v[14:15], v[16:17] offset0:16 offset1:20
	s_waitcnt lgkmcnt(0)
	s_barrier
.LBB38_2:
	s_andn2_b64 vcc, exec, s[4:5]
	v_cmp_gt_u32_e64 s[4:5], s28, v0
	s_cbranch_vccnz .LBB38_16
; %bb.3:
	s_load_dwordx2 s[8:9], s[6:7], 0x0
	v_mov_b32_e32 v27, 0
	v_lshl_add_u64 v[18:19], s[6:7], 0, v[26:27]
	s_waitcnt lgkmcnt(0)
	s_mov_b32 s10, s8
	s_mov_b32 s11, s9
	;; [unrolled: 1-line block ×10, first 2 shown]
	v_mov_b64_e32 v[2:3], s[8:9]
	v_mov_b64_e32 v[4:5], s[10:11]
	;; [unrolled: 1-line block ×8, first 2 shown]
	s_and_saveexec_b64 s[6:7], s[4:5]
	s_cbranch_execz .LBB38_5
; %bb.4:
	global_load_dwordx2 v[2:3], v[18:19], off
	v_mov_b32_e32 v4, s8
	v_mov_b32_e32 v5, s9
	;; [unrolled: 1-line block ×10, first 2 shown]
.LBB38_5:
	s_or_b64 exec, exec, s[6:7]
	v_or_b32_e32 v1, 0x100, v0
	v_cmp_gt_u32_e32 vcc, s28, v1
	s_and_saveexec_b64 s[4:5], vcc
	s_cbranch_execz .LBB38_7
; %bb.6:
	global_load_dwordx2 v[4:5], v[18:19], off offset:2048
.LBB38_7:
	s_or_b64 exec, exec, s[4:5]
	v_or_b32_e32 v1, 0x200, v0
	v_cmp_gt_u32_e32 vcc, s28, v1
	s_and_saveexec_b64 s[4:5], vcc
	s_cbranch_execz .LBB38_9
; %bb.8:
	v_add_co_u32_e32 v6, vcc, 0x1000, v18
	s_nop 1
	v_addc_co_u32_e32 v7, vcc, 0, v19, vcc
	global_load_dwordx2 v[6:7], v[6:7], off
.LBB38_9:
	s_or_b64 exec, exec, s[4:5]
	v_or_b32_e32 v1, 0x300, v0
	v_cmp_gt_u32_e32 vcc, s28, v1
	s_and_saveexec_b64 s[4:5], vcc
	s_cbranch_execz .LBB38_11
; %bb.10:
	v_add_co_u32_e32 v8, vcc, 0x1000, v18
	s_nop 1
	v_addc_co_u32_e32 v9, vcc, 0, v19, vcc
	global_load_dwordx2 v[8:9], v[8:9], off offset:2048
.LBB38_11:
	s_or_b64 exec, exec, s[4:5]
	v_or_b32_e32 v1, 0x400, v0
	v_cmp_gt_u32_e32 vcc, s28, v1
	s_and_saveexec_b64 s[4:5], vcc
	s_cbranch_execz .LBB38_13
; %bb.12:
	v_add_co_u32_e32 v10, vcc, 0x2000, v18
	s_nop 1
	v_addc_co_u32_e32 v11, vcc, 0, v19, vcc
	global_load_dwordx2 v[10:11], v[10:11], off
.LBB38_13:
	s_or_b64 exec, exec, s[4:5]
	v_or_b32_e32 v1, 0x500, v0
	v_cmp_gt_u32_e32 vcc, s28, v1
	s_and_saveexec_b64 s[4:5], vcc
	s_cbranch_execz .LBB38_15
; %bb.14:
	v_add_co_u32_e32 v12, vcc, 0x2000, v18
	s_nop 1
	v_addc_co_u32_e32 v13, vcc, 0, v19, vcc
	global_load_dwordx2 v[12:13], v[12:13], off offset:2048
.LBB38_15:
	s_or_b64 exec, exec, s[4:5]
	s_waitcnt vmcnt(0)
	ds_write2st64_b64 v26, v[2:3], v[4:5] offset1:4
	ds_write2st64_b64 v26, v[6:7], v[8:9] offset0:8 offset1:12
	ds_write2st64_b64 v26, v[10:11], v[12:13] offset0:16 offset1:20
	s_waitcnt lgkmcnt(0)
	s_barrier
.LBB38_16:
	v_mul_u32_u24_e32 v1, 48, v0
	ds_read_b128 v[10:13], v1
	ds_read_b128 v[6:9], v1 offset:16
	ds_read_b128 v[2:5], v1 offset:32
	s_load_dwordx2 s[12:13], s[0:1], 0x28
	s_cmp_lg_u32 s2, 0
	v_mbcnt_lo_u32_b32 v27, -1, 0
	s_waitcnt lgkmcnt(0)
	s_barrier
	s_cbranch_scc0 .LBB38_40
; %bb.17:
	v_lshl_add_u64 v[14:15], v[12:13], 0, v[10:11]
	v_lshl_add_u64 v[14:15], v[14:15], 0, v[6:7]
	;; [unrolled: 1-line block ×5, first 2 shown]
	v_mov_b32_e32 v18, 0
	v_mbcnt_hi_u32_b32 v30, -1, v27
	v_mov_b32_dpp v16, v14 row_shr:1 row_mask:0xf bank_mask:0xf
	v_mov_b32_e32 v17, v18
	v_and_b32_e32 v20, 15, v30
	v_mov_b32_dpp v19, v15 row_shr:1 row_mask:0xf bank_mask:0xf
	v_lshl_add_u64 v[16:17], v[14:15], 0, v[16:17]
	v_lshl_add_u64 v[18:19], v[18:19], 0, v[16:17]
	v_cmp_eq_u32_e32 vcc, 0, v20
	v_cmp_eq_u32_e64 s[4:5], 0, v30
	v_cmp_ne_u32_e64 s[6:7], 0, v30
	v_cndmask_b32_e32 v21, v16, v14, vcc
	v_cndmask_b32_e32 v17, v19, v15, vcc
	v_cndmask_b32_e32 v16, v18, v14, vcc
	v_mov_b32_dpp v18, v21 row_shr:2 row_mask:0xf bank_mask:0xf
	v_mov_b32_dpp v19, v17 row_shr:2 row_mask:0xf bank_mask:0xf
	v_lshl_add_u64 v[18:19], v[18:19], 0, v[16:17]
	v_cmp_lt_u32_e32 vcc, 1, v20
	s_nop 1
	v_cndmask_b32_e32 v21, v21, v18, vcc
	v_cndmask_b32_e32 v17, v17, v19, vcc
	v_cndmask_b32_e32 v16, v16, v18, vcc
	v_mov_b32_dpp v18, v21 row_shr:4 row_mask:0xf bank_mask:0xf
	v_mov_b32_dpp v19, v17 row_shr:4 row_mask:0xf bank_mask:0xf
	v_lshl_add_u64 v[18:19], v[18:19], 0, v[16:17]
	v_cmp_lt_u32_e32 vcc, 3, v20
	s_nop 1
	;; [unrolled: 8-line block ×3, first 2 shown]
	v_cndmask_b32_e32 v20, v21, v18, vcc
	v_cndmask_b32_e32 v17, v17, v19, vcc
	;; [unrolled: 1-line block ×3, first 2 shown]
	v_mov_b32_dpp v18, v20 row_bcast:15 row_mask:0xf bank_mask:0xf
	v_mov_b32_dpp v19, v17 row_bcast:15 row_mask:0xf bank_mask:0xf
	v_and_b32_e32 v21, 16, v30
	v_lshl_add_u64 v[18:19], v[18:19], 0, v[16:17]
	v_cmp_eq_u32_e32 vcc, 0, v21
	s_nop 1
	v_cndmask_b32_e32 v21, v19, v17, vcc
	v_cndmask_b32_e32 v20, v18, v20, vcc
	s_nop 0
	v_mov_b32_dpp v21, v21 row_bcast:31 row_mask:0xf bank_mask:0xf
	v_mov_b32_dpp v20, v20 row_bcast:31 row_mask:0xf bank_mask:0xf
	s_and_saveexec_b64 s[8:9], s[6:7]
; %bb.18:
	v_cndmask_b32_e32 v15, v19, v17, vcc
	v_cndmask_b32_e32 v14, v18, v16, vcc
	v_cmp_lt_u32_e32 vcc, 31, v30
	s_nop 1
	v_cndmask_b32_e32 v17, 0, v21, vcc
	v_cndmask_b32_e32 v16, 0, v20, vcc
	v_lshl_add_u64 v[14:15], v[16:17], 0, v[14:15]
; %bb.19:
	s_or_b64 exec, exec, s[8:9]
	v_or_b32_e32 v17, 63, v0
	v_lshrrev_b32_e32 v16, 6, v0
	v_cmp_eq_u32_e32 vcc, v0, v17
	s_and_saveexec_b64 s[6:7], vcc
; %bb.20:
	v_lshlrev_b32_e32 v17, 3, v16
	ds_write_b64 v17, v[14:15]
; %bb.21:
	s_or_b64 exec, exec, s[6:7]
	v_cmp_gt_u32_e32 vcc, 4, v0
	s_waitcnt lgkmcnt(0)
	s_barrier
	s_and_saveexec_b64 s[6:7], vcc
	s_cbranch_execz .LBB38_23
; %bb.22:
	ds_read_b64 v[18:19], v26
	v_mov_b32_e32 v20, 0
	v_mov_b32_e32 v23, v20
	v_and_b32_e32 v17, 3, v30
	v_cmp_eq_u32_e32 vcc, 0, v17
	s_waitcnt lgkmcnt(0)
	v_mov_b32_dpp v22, v18 row_shr:1 row_mask:0xf bank_mask:0xf
	v_mov_b32_dpp v21, v19 row_shr:1 row_mask:0xf bank_mask:0xf
	v_lshl_add_u64 v[22:23], v[18:19], 0, v[22:23]
	v_lshl_add_u64 v[20:21], v[20:21], 0, v[22:23]
	v_cndmask_b32_e32 v21, v21, v19, vcc
	v_cndmask_b32_e32 v20, v20, v18, vcc
	;; [unrolled: 1-line block ×3, first 2 shown]
	v_mov_b32_dpp v19, v21 row_shr:2 row_mask:0xf bank_mask:0xf
	v_cmp_lt_u32_e32 vcc, 1, v17
	v_mov_b32_dpp v18, v18 row_shr:2 row_mask:0xf bank_mask:0xf
	s_nop 0
	v_cndmask_b32_e32 v18, 0, v18, vcc
	v_cndmask_b32_e32 v19, 0, v19, vcc
	v_lshl_add_u64 v[18:19], v[18:19], 0, v[20:21]
	ds_write_b64 v26, v[18:19]
.LBB38_23:
	s_or_b64 exec, exec, s[6:7]
	v_cmp_gt_u32_e32 vcc, 64, v0
	v_cmp_lt_u32_e64 s[6:7], 63, v0
	s_waitcnt lgkmcnt(0)
	s_barrier
                                        ; implicit-def: $vgpr22_vgpr23
	s_and_saveexec_b64 s[8:9], s[6:7]
	s_cbranch_execz .LBB38_25
; %bb.24:
	v_lshl_add_u32 v16, v16, 3, -8
	ds_read_b64 v[22:23], v16
	s_waitcnt lgkmcnt(0)
	v_lshl_add_u64 v[14:15], v[22:23], 0, v[14:15]
.LBB38_25:
	s_or_b64 exec, exec, s[8:9]
	v_add_u32_e32 v16, -1, v30
	v_and_b32_e32 v17, 64, v30
	v_cmp_lt_i32_e64 s[6:7], v16, v17
	s_nop 1
	v_cndmask_b32_e64 v16, v16, v30, s[6:7]
	v_lshlrev_b32_e32 v16, 2, v16
	ds_bpermute_b32 v32, v16, v14
	ds_bpermute_b32 v33, v16, v15
	s_and_saveexec_b64 s[14:15], vcc
	s_cbranch_execz .LBB38_45
; %bb.26:
	v_mov_b32_e32 v17, 0
	ds_read_b64 v[14:15], v17 offset:24
	s_and_saveexec_b64 s[6:7], s[4:5]
	s_cbranch_execz .LBB38_28
; %bb.27:
	s_add_i32 s8, s2, 64
	s_mov_b32 s9, 0
	s_lshl_b64 s[8:9], s[8:9], 4
	s_add_u32 s8, s12, s8
	s_addc_u32 s9, s13, s9
	v_mov_b32_e32 v16, 1
	v_mov_b64_e32 v[18:19], s[8:9]
	s_waitcnt lgkmcnt(0)
	;;#ASMSTART
	global_store_dwordx4 v[18:19], v[14:17] off sc1	
s_waitcnt vmcnt(0)
	;;#ASMEND
.LBB38_28:
	s_or_b64 exec, exec, s[6:7]
	v_xad_u32 v24, v30, -1, s2
	v_add_u32_e32 v16, 64, v24
	v_lshl_add_u64 v[28:29], v[16:17], 4, s[12:13]
	;;#ASMSTART
	global_load_dwordx4 v[18:21], v[28:29] off sc1	
s_waitcnt vmcnt(0)
	;;#ASMEND
	s_nop 0
	v_cmp_eq_u16_sdwa s[8:9], v20, v17 src0_sel:BYTE_0 src1_sel:DWORD
	s_and_saveexec_b64 s[6:7], s[8:9]
	s_cbranch_execz .LBB38_32
; %bb.29:
	s_mov_b64 s[8:9], 0
	v_mov_b32_e32 v16, 0
.LBB38_30:                              ; =>This Inner Loop Header: Depth=1
	;;#ASMSTART
	global_load_dwordx4 v[18:21], v[28:29] off sc1	
s_waitcnt vmcnt(0)
	;;#ASMEND
	s_nop 0
	v_cmp_ne_u16_sdwa s[10:11], v20, v16 src0_sel:BYTE_0 src1_sel:DWORD
	s_or_b64 s[8:9], s[10:11], s[8:9]
	s_andn2_b64 exec, exec, s[8:9]
	s_cbranch_execnz .LBB38_30
; %bb.31:
	s_or_b64 exec, exec, s[8:9]
.LBB38_32:
	s_or_b64 exec, exec, s[6:7]
	v_mov_b32_e32 v34, 2
	v_cmp_eq_u16_sdwa s[6:7], v20, v34 src0_sel:BYTE_0 src1_sel:DWORD
	v_lshlrev_b64 v[16:17], v30, -1
	v_and_b32_e32 v31, 63, v30
	v_and_b32_e32 v21, s7, v17
	v_or_b32_e32 v21, 0x80000000, v21
	v_and_b32_e32 v25, s6, v16
	v_ffbl_b32_e32 v21, v21
	v_add_u32_e32 v21, 32, v21
	v_ffbl_b32_e32 v25, v25
	v_cmp_ne_u32_e32 vcc, 63, v31
	v_min_u32_e32 v21, v25, v21
	v_add_u32_e32 v36, 1, v30
	v_addc_co_u32_e32 v25, vcc, 0, v30, vcc
	v_lshlrev_b32_e32 v35, 2, v25
	ds_bpermute_b32 v28, v35, v18
	ds_bpermute_b32 v39, v35, v19
	v_mov_b32_e32 v25, 0
	v_mov_b32_e32 v29, v25
	;; [unrolled: 1-line block ×3, first 2 shown]
	s_waitcnt lgkmcnt(1)
	v_lshl_add_u64 v[28:29], v[18:19], 0, v[28:29]
	v_cmp_le_u32_e32 vcc, v36, v21
	v_cmp_gt_u32_e64 s[6:7], 62, v31
	s_waitcnt lgkmcnt(0)
	v_lshl_add_u64 v[38:39], v[38:39], 0, v[28:29]
	v_cndmask_b32_e32 v42, v18, v28, vcc
	v_cndmask_b32_e64 v28, 0, 2, s[6:7]
	v_cndmask_b32_e32 v29, v19, v39, vcc
	v_add_lshl_u32 v37, v28, v30, 2
	ds_bpermute_b32 v40, v37, v42
	ds_bpermute_b32 v41, v37, v29
	v_cndmask_b32_e32 v28, v18, v38, vcc
	v_add_u32_e32 v38, 2, v30
	v_cmp_gt_u32_e64 s[8:9], 60, v31
	v_cmp_le_u32_e64 s[6:7], v38, v21
	s_waitcnt lgkmcnt(0)
	v_lshl_add_u64 v[40:41], v[40:41], 0, v[28:29]
	v_cndmask_b32_e64 v39, 0, 4, s[8:9]
	v_cndmask_b32_e64 v44, v42, v40, s[6:7]
	;; [unrolled: 1-line block ×3, first 2 shown]
	v_add_lshl_u32 v39, v39, v30, 2
	ds_bpermute_b32 v42, v39, v44
	ds_bpermute_b32 v43, v39, v29
	v_cndmask_b32_e64 v28, v28, v40, s[6:7]
	v_add_u32_e32 v40, 4, v30
	v_cmp_gt_u32_e64 s[10:11], 56, v31
	v_cmp_le_u32_e64 s[8:9], v40, v21
	s_waitcnt lgkmcnt(0)
	v_lshl_add_u64 v[42:43], v[42:43], 0, v[28:29]
	v_cndmask_b32_e64 v41, 0, 8, s[10:11]
	v_cndmask_b32_e64 v46, v44, v42, s[8:9]
	;; [unrolled: 1-line block ×3, first 2 shown]
	v_add_lshl_u32 v41, v41, v30, 2
	ds_bpermute_b32 v44, v41, v46
	ds_bpermute_b32 v45, v41, v29
	s_or_b64 s[10:11], vcc, s[6:7]
	v_cndmask_b32_e64 v28, v28, v42, s[8:9]
	v_add_u32_e32 v42, 8, v30
	v_cmp_gt_u32_e64 s[6:7], 48, v31
	s_waitcnt lgkmcnt(0)
	v_lshl_add_u64 v[44:45], v[44:45], 0, v[28:29]
	v_cmp_le_u32_e32 vcc, v42, v21
	v_cndmask_b32_e64 v31, 0, 16, s[6:7]
	v_add_lshl_u32 v43, v31, v30, 2
	v_cndmask_b32_e32 v50, v46, v44, vcc
	v_cndmask_b32_e32 v29, v29, v45, vcc
	ds_bpermute_b32 v46, v43, v50
	ds_bpermute_b32 v47, v43, v29
	s_or_b64 s[6:7], s[8:9], s[10:11]
	v_cndmask_b32_e32 v28, v28, v44, vcc
	v_add_u32_e32 v44, 16, v30
	s_or_b64 s[6:7], vcc, s[6:7]
	s_waitcnt lgkmcnt(0)
	v_lshl_add_u64 v[48:49], v[46:47], 0, v[28:29]
	v_cmp_le_u32_e32 vcc, v44, v21
	v_mov_b32_e32 v45, 0x80
	v_lshl_or_b32 v45, v30, 2, v45
	v_cndmask_b32_e32 v31, v50, v48, vcc
	v_cndmask_b32_e32 v29, v29, v49, vcc
	ds_bpermute_b32 v47, v45, v29
	ds_bpermute_b32 v49, v45, v31
	v_add_u32_e32 v46, 32, v30
	s_or_b64 s[6:7], vcc, s[6:7]
	v_cndmask_b32_e32 v28, v28, v48, vcc
	v_cmp_le_u32_e32 vcc, v46, v21
	s_waitcnt lgkmcnt(1)
	s_nop 0
	v_cndmask_b32_e32 v31, 0, v47, vcc
	s_waitcnt lgkmcnt(0)
	v_cndmask_b32_e32 v30, 0, v49, vcc
	v_lshl_add_u64 v[28:29], v[30:31], 0, v[28:29]
	s_or_b64 vcc, vcc, s[6:7]
	v_cndmask_b32_e32 v19, v19, v29, vcc
	v_cndmask_b32_e32 v18, v18, v28, vcc
	s_branch .LBB38_36
.LBB38_33:                              ;   in Loop: Header=BB38_36 Depth=1
	s_or_b64 exec, exec, s[8:9]
.LBB38_34:                              ;   in Loop: Header=BB38_36 Depth=1
	s_or_b64 exec, exec, s[6:7]
	v_cmp_eq_u16_sdwa s[6:7], v20, v34 src0_sel:BYTE_0 src1_sel:DWORD
	v_subrev_u32_e32 v21, 64, v24
	ds_bpermute_b32 v31, v35, v19
	v_and_b32_e32 v24, s7, v17
	v_or_b32_e32 v24, 0x80000000, v24
	v_ffbl_b32_e32 v24, v24
	v_add_u32_e32 v47, 32, v24
	ds_bpermute_b32 v24, v35, v18
	v_and_b32_e32 v30, s6, v16
	v_ffbl_b32_e32 v30, v30
	v_min_u32_e32 v47, v30, v47
	v_mov_b32_e32 v30, v25
	s_waitcnt lgkmcnt(0)
	v_lshl_add_u64 v[48:49], v[18:19], 0, v[24:25]
	v_lshl_add_u64 v[30:31], v[30:31], 0, v[48:49]
	v_cmp_le_u32_e32 vcc, v36, v47
	v_cmp_le_u32_e64 s[6:7], v38, v47
	v_cmp_le_u32_e64 s[8:9], v40, v47
	v_cndmask_b32_e32 v24, v18, v48, vcc
	v_cndmask_b32_e32 v31, v19, v31, vcc
	ds_bpermute_b32 v48, v37, v24
	ds_bpermute_b32 v49, v37, v31
	v_cndmask_b32_e32 v30, v18, v30, vcc
	v_cmp_le_u32_e64 s[10:11], v42, v47
	s_waitcnt lgkmcnt(0)
	v_lshl_add_u64 v[48:49], v[48:49], 0, v[30:31]
	v_cndmask_b32_e64 v24, v24, v48, s[6:7]
	v_cndmask_b32_e64 v31, v31, v49, s[6:7]
	ds_bpermute_b32 v50, v39, v24
	ds_bpermute_b32 v51, v39, v31
	v_cndmask_b32_e64 v30, v30, v48, s[6:7]
	s_or_b64 s[6:7], vcc, s[6:7]
	v_cmp_le_u32_e32 vcc, v44, v47
	s_or_b64 s[6:7], s[8:9], s[6:7]
	s_waitcnt lgkmcnt(0)
	v_lshl_add_u64 v[48:49], v[50:51], 0, v[30:31]
	v_cndmask_b32_e64 v24, v24, v48, s[8:9]
	v_cndmask_b32_e64 v31, v31, v49, s[8:9]
	ds_bpermute_b32 v50, v41, v24
	ds_bpermute_b32 v51, v41, v31
	v_cndmask_b32_e64 v30, v30, v48, s[8:9]
	s_or_b64 s[6:7], s[10:11], s[6:7]
	s_or_b64 s[6:7], vcc, s[6:7]
	s_waitcnt lgkmcnt(0)
	v_lshl_add_u64 v[48:49], v[50:51], 0, v[30:31]
	v_cndmask_b32_e64 v24, v24, v48, s[10:11]
	v_cndmask_b32_e64 v31, v31, v49, s[10:11]
	ds_bpermute_b32 v50, v43, v24
	ds_bpermute_b32 v51, v43, v31
	v_cndmask_b32_e64 v30, v30, v48, s[10:11]
	s_waitcnt lgkmcnt(0)
	v_lshl_add_u64 v[48:49], v[50:51], 0, v[30:31]
	v_cndmask_b32_e32 v24, v24, v48, vcc
	v_cndmask_b32_e32 v31, v31, v49, vcc
	ds_bpermute_b32 v49, v45, v31
	ds_bpermute_b32 v24, v45, v24
	v_cndmask_b32_e32 v30, v30, v48, vcc
	v_cmp_le_u32_e32 vcc, v46, v47
	s_waitcnt lgkmcnt(1)
	s_nop 0
	v_cndmask_b32_e32 v49, 0, v49, vcc
	s_waitcnt lgkmcnt(0)
	v_cndmask_b32_e32 v48, 0, v24, vcc
	v_lshl_add_u64 v[30:31], v[48:49], 0, v[30:31]
	s_or_b64 vcc, vcc, s[6:7]
	v_cndmask_b32_e32 v19, v19, v31, vcc
	v_cndmask_b32_e32 v18, v18, v30, vcc
	v_lshl_add_u64 v[18:19], v[18:19], 0, v[28:29]
	s_mov_b64 s[6:7], 0
	v_mov_b32_e32 v24, v21
.LBB38_35:                              ;   in Loop: Header=BB38_36 Depth=1
	s_and_b64 vcc, exec, s[6:7]
	s_cbranch_vccnz .LBB38_41
.LBB38_36:                              ; =>This Loop Header: Depth=1
                                        ;     Child Loop BB38_39 Depth 2
	v_cmp_ne_u16_sdwa s[6:7], v20, v34 src0_sel:BYTE_0 src1_sel:DWORD
	v_mov_b64_e32 v[28:29], v[18:19]
	s_cmp_lg_u64 s[6:7], exec
	s_mov_b64 s[6:7], -1
                                        ; implicit-def: $vgpr18_vgpr19
                                        ; implicit-def: $vgpr20
	s_cbranch_scc1 .LBB38_35
; %bb.37:                               ;   in Loop: Header=BB38_36 Depth=1
	v_lshl_add_u64 v[30:31], v[24:25], 4, s[12:13]
	;;#ASMSTART
	global_load_dwordx4 v[18:21], v[30:31] off sc1	
s_waitcnt vmcnt(0)
	;;#ASMEND
	s_nop 0
	v_cmp_eq_u16_sdwa s[8:9], v20, v25 src0_sel:BYTE_0 src1_sel:DWORD
	s_and_saveexec_b64 s[6:7], s[8:9]
	s_cbranch_execz .LBB38_34
; %bb.38:                               ;   in Loop: Header=BB38_36 Depth=1
	s_mov_b64 s[8:9], 0
.LBB38_39:                              ;   Parent Loop BB38_36 Depth=1
                                        ; =>  This Inner Loop Header: Depth=2
	;;#ASMSTART
	global_load_dwordx4 v[18:21], v[30:31] off sc1	
s_waitcnt vmcnt(0)
	;;#ASMEND
	s_nop 0
	v_cmp_ne_u16_sdwa s[10:11], v20, v25 src0_sel:BYTE_0 src1_sel:DWORD
	s_or_b64 s[8:9], s[10:11], s[8:9]
	s_andn2_b64 exec, exec, s[8:9]
	s_cbranch_execnz .LBB38_39
	s_branch .LBB38_33
.LBB38_40:
                                        ; implicit-def: $vgpr16_vgpr17
                                        ; implicit-def: $vgpr20_vgpr21
                                        ; implicit-def: $vgpr24_vgpr25
	s_load_dwordx4 s[8:11], s[0:1], 0x38
	s_cbranch_execnz .LBB38_46
	s_branch .LBB38_59
.LBB38_41:
	s_and_saveexec_b64 s[6:7], s[4:5]
	s_cbranch_execz .LBB38_43
; %bb.42:
	s_add_i32 s2, s2, 64
	s_mov_b32 s3, 0
	s_lshl_b64 s[2:3], s[2:3], 4
	s_add_u32 s2, s12, s2
	s_addc_u32 s3, s13, s3
	v_lshl_add_u64 v[14:15], v[28:29], 0, v[14:15]
	v_mov_b32_e32 v16, 2
	v_mov_b32_e32 v17, 0
	v_mov_b64_e32 v[18:19], s[2:3]
	;;#ASMSTART
	global_store_dwordx4 v[18:19], v[14:17] off sc1	
s_waitcnt vmcnt(0)
	;;#ASMEND
.LBB38_43:
	s_or_b64 exec, exec, s[6:7]
	v_cmp_eq_u32_e32 vcc, 0, v0
	s_and_b64 exec, exec, vcc
; %bb.44:
	v_mov_b32_e32 v14, 0
	ds_write_b64 v14, v[28:29] offset:24
.LBB38_45:
	s_or_b64 exec, exec, s[14:15]
	v_mov_b32_e32 v14, 0
	s_waitcnt lgkmcnt(0)
	s_barrier
	ds_read_b64 v[14:15], v14 offset:24
	v_cndmask_b32_e64 v16, v32, v22, s[4:5]
	v_cndmask_b32_e64 v17, v33, v23, s[4:5]
	v_cmp_ne_u32_e32 vcc, 0, v0
	s_nop 1
	v_cndmask_b32_e32 v17, 0, v17, vcc
	v_cndmask_b32_e32 v16, 0, v16, vcc
	v_lshl_add_u64 v[16:17], v[16:17], 0, v[10:11]
	s_waitcnt lgkmcnt(0)
	v_lshl_add_u64 v[22:23], v[16:17], 0, v[14:15]
	v_lshl_add_u64 v[24:25], v[22:23], 0, v[12:13]
	;; [unrolled: 1-line block ×6, first 2 shown]
	s_load_dwordx4 s[8:11], s[0:1], 0x38
	s_branch .LBB38_59
.LBB38_46:
	s_load_dword s2, s[0:1], 0x48
	v_cmp_eq_u32_e32 vcc, 0, v0
	s_waitcnt lgkmcnt(0)
	s_bitcmp1_b32 s2, 0
	s_cselect_b64 s[2:3], -1, 0
	s_and_b64 s[4:5], vcc, s[2:3]
	s_and_saveexec_b64 s[2:3], s[4:5]
	s_cbranch_execz .LBB38_48
; %bb.47:
	v_mov_b32_e32 v14, 0
	global_load_dwordx2 v[14:15], v14, s[8:9]
	s_waitcnt vmcnt(0)
	v_lshl_add_u64 v[10:11], v[14:15], 0, v[10:11]
.LBB38_48:
	s_or_b64 exec, exec, s[2:3]
	v_lshl_add_u64 v[14:15], v[12:13], 0, v[10:11]
	v_lshl_add_u64 v[14:15], v[14:15], 0, v[6:7]
	;; [unrolled: 1-line block ×5, first 2 shown]
	v_mov_b32_e32 v18, 0
	v_mbcnt_hi_u32_b32 v20, -1, v27
	v_mov_b32_dpp v16, v14 row_shr:1 row_mask:0xf bank_mask:0xf
	v_mov_b32_e32 v17, v18
	v_and_b32_e32 v21, 15, v20
	v_mov_b32_dpp v19, v15 row_shr:1 row_mask:0xf bank_mask:0xf
	v_lshl_add_u64 v[16:17], v[14:15], 0, v[16:17]
	v_lshl_add_u64 v[18:19], v[16:17], 0, v[18:19]
	v_cmp_eq_u32_e64 s[2:3], 0, v21
	v_cmp_ne_u32_e64 s[6:7], 0, v20
	s_nop 0
	v_cndmask_b32_e64 v22, v16, v14, s[2:3]
	v_cndmask_b32_e64 v17, v19, v15, s[2:3]
	v_cndmask_b32_e64 v16, v18, v14, s[2:3]
	v_mov_b32_dpp v18, v22 row_shr:2 row_mask:0xf bank_mask:0xf
	v_mov_b32_dpp v19, v17 row_shr:2 row_mask:0xf bank_mask:0xf
	v_lshl_add_u64 v[18:19], v[18:19], 0, v[16:17]
	v_cmp_lt_u32_e64 s[2:3], 1, v21
	s_nop 1
	v_cndmask_b32_e64 v22, v22, v18, s[2:3]
	v_cndmask_b32_e64 v17, v17, v19, s[2:3]
	v_cndmask_b32_e64 v16, v16, v18, s[2:3]
	v_mov_b32_dpp v18, v22 row_shr:4 row_mask:0xf bank_mask:0xf
	v_mov_b32_dpp v19, v17 row_shr:4 row_mask:0xf bank_mask:0xf
	v_lshl_add_u64 v[18:19], v[18:19], 0, v[16:17]
	v_cmp_lt_u32_e64 s[2:3], 3, v21
	;; [unrolled: 8-line block ×3, first 2 shown]
	s_nop 1
	v_cndmask_b32_e64 v21, v22, v18, s[2:3]
	v_cndmask_b32_e64 v17, v17, v19, s[2:3]
	;; [unrolled: 1-line block ×3, first 2 shown]
	v_mov_b32_dpp v18, v21 row_bcast:15 row_mask:0xf bank_mask:0xf
	v_mov_b32_dpp v19, v17 row_bcast:15 row_mask:0xf bank_mask:0xf
	v_and_b32_e32 v22, 16, v20
	v_lshl_add_u64 v[18:19], v[18:19], 0, v[16:17]
	v_cmp_eq_u32_e64 s[4:5], 0, v22
	v_cmp_eq_u32_e64 s[2:3], 0, v20
	s_nop 0
	v_cndmask_b32_e64 v22, v19, v17, s[4:5]
	v_cndmask_b32_e64 v21, v18, v21, s[4:5]
	s_nop 0
	v_mov_b32_dpp v22, v22 row_bcast:31 row_mask:0xf bank_mask:0xf
	v_mov_b32_dpp v21, v21 row_bcast:31 row_mask:0xf bank_mask:0xf
	s_and_saveexec_b64 s[8:9], s[6:7]
; %bb.49:
	v_cndmask_b32_e64 v15, v19, v17, s[4:5]
	v_cndmask_b32_e64 v14, v18, v16, s[4:5]
	v_cmp_lt_u32_e64 s[4:5], 31, v20
	s_nop 1
	v_cndmask_b32_e64 v17, 0, v22, s[4:5]
	v_cndmask_b32_e64 v16, 0, v21, s[4:5]
	v_lshl_add_u64 v[14:15], v[16:17], 0, v[14:15]
; %bb.50:
	s_or_b64 exec, exec, s[8:9]
	v_or_b32_e32 v16, 63, v0
	v_lshrrev_b32_e32 v18, 6, v0
	v_cmp_eq_u32_e64 s[4:5], v0, v16
	s_and_saveexec_b64 s[6:7], s[4:5]
; %bb.51:
	v_lshlrev_b32_e32 v16, 3, v18
	ds_write_b64 v16, v[14:15]
; %bb.52:
	s_or_b64 exec, exec, s[6:7]
	v_cmp_gt_u32_e64 s[4:5], 4, v0
	s_waitcnt lgkmcnt(0)
	s_barrier
	s_and_saveexec_b64 s[6:7], s[4:5]
	s_cbranch_execz .LBB38_54
; %bb.53:
	s_movk_i32 s4, 0xffd8
	v_mad_i32_i24 v19, v0, s4, v1
	ds_read_b64 v[16:17], v19
	v_mov_b32_e32 v22, 0
	v_mov_b32_e32 v25, v22
	v_and_b32_e32 v21, 3, v20
	v_cmp_eq_u32_e64 s[4:5], 0, v21
	s_waitcnt lgkmcnt(0)
	v_mov_b32_dpp v24, v16 row_shr:1 row_mask:0xf bank_mask:0xf
	v_mov_b32_dpp v23, v17 row_shr:1 row_mask:0xf bank_mask:0xf
	v_lshl_add_u64 v[24:25], v[16:17], 0, v[24:25]
	v_lshl_add_u64 v[22:23], v[22:23], 0, v[24:25]
	v_cndmask_b32_e64 v23, v23, v17, s[4:5]
	v_cndmask_b32_e64 v22, v22, v16, s[4:5]
	;; [unrolled: 1-line block ×3, first 2 shown]
	v_mov_b32_dpp v17, v23 row_shr:2 row_mask:0xf bank_mask:0xf
	v_cmp_lt_u32_e64 s[4:5], 1, v21
	v_mov_b32_dpp v16, v16 row_shr:2 row_mask:0xf bank_mask:0xf
	s_nop 0
	v_cndmask_b32_e64 v16, 0, v16, s[4:5]
	v_cndmask_b32_e64 v17, 0, v17, s[4:5]
	v_lshl_add_u64 v[16:17], v[16:17], 0, v[22:23]
	ds_write_b64 v19, v[16:17]
.LBB38_54:
	s_or_b64 exec, exec, s[6:7]
	v_cmp_lt_u32_e64 s[4:5], 63, v0
	s_waitcnt lgkmcnt(0)
	s_barrier
                                        ; implicit-def: $vgpr16_vgpr17
	s_and_saveexec_b64 s[6:7], s[4:5]
	s_cbranch_execz .LBB38_56
; %bb.55:
	v_lshl_add_u32 v16, v18, 3, -8
	ds_read_b64 v[16:17], v16
	s_waitcnt lgkmcnt(0)
	v_lshl_add_u64 v[14:15], v[16:17], 0, v[14:15]
.LBB38_56:
	s_or_b64 exec, exec, s[6:7]
	v_add_u32_e32 v18, -1, v20
	v_and_b32_e32 v19, 64, v20
	v_cmp_lt_i32_e64 s[4:5], v18, v19
	s_nop 1
	v_cndmask_b32_e64 v18, v18, v20, s[4:5]
	v_lshlrev_b32_e32 v18, 2, v18
	ds_bpermute_b32 v14, v18, v14
	ds_bpermute_b32 v15, v18, v15
	s_waitcnt lgkmcnt(1)
	v_cndmask_b32_e64 v14, v14, v16, s[2:3]
	s_waitcnt lgkmcnt(0)
	v_cndmask_b32_e64 v15, v15, v17, s[2:3]
	v_cndmask_b32_e64 v15, v15, 0, vcc
	v_cndmask_b32_e64 v14, v14, 0, vcc
	v_lshl_add_u64 v[22:23], v[14:15], 0, v[10:11]
	v_lshl_add_u64 v[24:25], v[22:23], 0, v[12:13]
	;; [unrolled: 1-line block ×5, first 2 shown]
	s_and_saveexec_b64 s[2:3], vcc
	s_cbranch_execz .LBB38_58
; %bb.57:
	s_add_u32 s4, s12, 0x400
	v_mov_b32_e32 v9, 0
	s_addc_u32 s5, s13, 0
	ds_read_b64 v[6:7], v9 offset:24
	v_mov_b32_e32 v8, 2
	v_mov_b64_e32 v[2:3], s[4:5]
	s_waitcnt lgkmcnt(0)
	;;#ASMSTART
	global_store_dwordx4 v[2:3], v[6:9] off sc1	
s_waitcnt vmcnt(0)
	;;#ASMEND
.LBB38_58:
	s_or_b64 exec, exec, s[2:3]
	v_lshl_add_u64 v[16:17], v[14:15], 0, v[4:5]
.LBB38_59:
	s_add_u32 s2, s22, s26
	s_addc_u32 s3, s23, s27
	s_mov_b64 s[4:5], -1
	s_and_b64 vcc, exec, s[24:25]
	s_waitcnt lgkmcnt(0)
	s_barrier
	s_cbranch_vccz .LBB38_61
; %bb.60:
	ds_write_b128 v1, v[22:25]
	ds_write_b128 v1, v[18:21] offset:16
	ds_write_b128 v1, v[14:17] offset:32
	s_waitcnt lgkmcnt(0)
	s_barrier
	ds_read2st64_b64 v[2:5], v26 offset1:4
	ds_read2st64_b64 v[6:9], v26 offset0:8 offset1:12
	ds_read2st64_b64 v[10:13], v26 offset0:16 offset1:20
	v_mov_b32_e32 v27, 0
	v_lshl_add_u64 v[28:29], s[2:3], 0, v[26:27]
	s_waitcnt lgkmcnt(2)
	global_store_dwordx2 v26, v[2:3], s[2:3]
	global_store_dwordx2 v26, v[4:5], s[2:3] offset:2048
	v_add_co_u32_e32 v2, vcc, 0x1000, v28
	s_mov_b64 s[4:5], 0
	s_nop 0
	v_addc_co_u32_e32 v3, vcc, 0, v29, vcc
	s_waitcnt lgkmcnt(1)
	global_store_dwordx2 v[2:3], v[6:7], off
	global_store_dwordx2 v[2:3], v[8:9], off offset:2048
	v_add_co_u32_e32 v2, vcc, 0x2000, v28
	s_nop 1
	v_addc_co_u32_e32 v3, vcc, 0, v29, vcc
	s_waitcnt lgkmcnt(0)
	global_store_dwordx2 v[2:3], v[10:11], off
	global_store_dwordx2 v[2:3], v[12:13], off offset:2048
.LBB38_61:
	s_andn2_b64 vcc, exec, s[4:5]
	s_cbranch_vccnz .LBB38_94
; %bb.62:
	ds_write_b128 v1, v[22:25]
	ds_write_b128 v1, v[18:21] offset:16
	ds_write_b128 v1, v[14:17] offset:32
	s_waitcnt lgkmcnt(0)
	s_barrier
	ds_read2st64_b64 v[4:7], v26 offset1:4
	ds_read2st64_b64 v[8:11], v26 offset0:8 offset1:12
	ds_read2st64_b64 v[12:15], v26 offset0:16 offset1:20
	v_mov_b32_e32 v27, 0
	v_lshl_add_u64 v[2:3], s[2:3], 0, v[26:27]
	v_cmp_gt_u32_e32 vcc, s28, v0
	s_and_saveexec_b64 s[2:3], vcc
	s_cbranch_execz .LBB38_64
; %bb.63:
	s_waitcnt lgkmcnt(2)
	global_store_dwordx2 v[2:3], v[4:5], off
.LBB38_64:
	s_or_b64 exec, exec, s[2:3]
	v_or_b32_e32 v1, 0x100, v0
	v_cmp_gt_u32_e32 vcc, s28, v1
	s_and_saveexec_b64 s[2:3], vcc
	s_cbranch_execz .LBB38_66
; %bb.65:
	s_waitcnt lgkmcnt(2)
	global_store_dwordx2 v[2:3], v[6:7], off offset:2048
.LBB38_66:
	s_or_b64 exec, exec, s[2:3]
	v_or_b32_e32 v1, 0x200, v0
	v_cmp_gt_u32_e32 vcc, s28, v1
	s_and_saveexec_b64 s[2:3], vcc
	s_cbranch_execz .LBB38_68
; %bb.67:
	v_add_co_u32_e32 v16, vcc, 0x1000, v2
	s_nop 1
	v_addc_co_u32_e32 v17, vcc, 0, v3, vcc
	s_waitcnt lgkmcnt(1)
	global_store_dwordx2 v[16:17], v[8:9], off
.LBB38_68:
	s_or_b64 exec, exec, s[2:3]
	v_or_b32_e32 v1, 0x300, v0
	v_cmp_gt_u32_e32 vcc, s28, v1
	s_and_saveexec_b64 s[2:3], vcc
	s_cbranch_execz .LBB38_70
; %bb.69:
	v_add_co_u32_e32 v16, vcc, 0x1000, v2
	s_nop 1
	v_addc_co_u32_e32 v17, vcc, 0, v3, vcc
	s_waitcnt lgkmcnt(1)
	global_store_dwordx2 v[16:17], v[10:11], off offset:2048
.LBB38_70:
	s_or_b64 exec, exec, s[2:3]
	v_or_b32_e32 v1, 0x400, v0
	v_cmp_gt_u32_e32 vcc, s28, v1
	s_and_saveexec_b64 s[2:3], vcc
	s_cbranch_execz .LBB38_72
; %bb.71:
	v_add_co_u32_e32 v16, vcc, 0x2000, v2
	s_nop 1
	v_addc_co_u32_e32 v17, vcc, 0, v3, vcc
	s_waitcnt lgkmcnt(0)
	global_store_dwordx2 v[16:17], v[12:13], off
.LBB38_72:
	s_or_b64 exec, exec, s[2:3]
	v_or_b32_e32 v1, 0x500, v0
	v_cmp_gt_u32_e32 vcc, s28, v1
	s_and_saveexec_b64 s[2:3], vcc
	s_cbranch_execz .LBB38_74
; %bb.73:
	v_add_co_u32_e32 v2, vcc, 0x2000, v2
	s_nop 1
	v_addc_co_u32_e32 v3, vcc, 0, v3, vcc
	s_waitcnt lgkmcnt(0)
	global_store_dwordx2 v[2:3], v[14:15], off offset:2048
.LBB38_74:
	s_or_b64 exec, exec, s[2:3]
	s_load_dword s0, s[0:1], 0x48
	s_waitcnt lgkmcnt(0)
	s_bfe_u32 s0, s0, 0x10008
	s_cmp_eq_u32 s0, 0
	s_cbranch_scc1 .LBB38_94
; %bb.75:
	s_add_u32 s0, s28, -1
	s_addc_u32 s1, s29, -1
	s_mul_i32 s5, s1, 0xaaaaaaab
	s_mul_hi_u32 s6, s0, 0xaaaaaaab
	s_mul_hi_u32 s4, s1, 0xaaaaaaab
	s_add_u32 s5, s5, s6
	s_mul_i32 s3, s0, 0xaaaaaaaa
	s_addc_u32 s4, s4, 0
	s_mul_hi_u32 s2, s0, 0xaaaaaaaa
	s_add_u32 s3, s3, s5
	s_addc_u32 s2, s2, 0
	s_add_u32 s2, s4, s2
	s_addc_u32 s3, 0, 0
	s_mul_i32 s5, s1, 0xaaaaaaaa
	s_mul_hi_u32 s4, s1, 0xaaaaaaaa
	s_add_u32 s2, s5, s2
	s_addc_u32 s3, s4, s3
	v_mov_b32_e32 v1, v27
	s_lshr_b64 s[2:3], s[2:3], 2
	v_cmp_eq_u64_e32 vcc, s[2:3], v[0:1]
	s_and_saveexec_b64 s[2:3], vcc
	s_cbranch_execz .LBB38_94
; %bb.76:
	v_mul_hi_u32_u24_e32 v1, 6, v0
	v_mul_u32_u24_e32 v0, 6, v0
	v_mov_b32_e32 v2, s1
	v_sub_co_u32_e32 v0, vcc, s0, v0
	s_nop 1
	v_subb_co_u32_e32 v1, vcc, v2, v1, vcc
	v_cmp_lt_i64_e32 vcc, 2, v[0:1]
	s_and_saveexec_b64 s[0:1], vcc
	s_xor_b64 s[0:1], exec, s[0:1]
	s_cbranch_execz .LBB38_86
; %bb.77:
	v_cmp_lt_i64_e32 vcc, 3, v[0:1]
	s_and_saveexec_b64 s[2:3], vcc
	s_xor_b64 s[2:3], exec, s[2:3]
	s_cbranch_execz .LBB38_83
; %bb.78:
	;; [unrolled: 5-line block ×3, first 2 shown]
	v_mov_b32_e32 v0, 0
	global_store_dwordx2 v0, v[14:15], s[10:11]
                                        ; implicit-def: $vgpr12_vgpr13_vgpr14_vgpr15
.LBB38_80:
	s_andn2_saveexec_b64 s[4:5], s[4:5]
	s_cbranch_execz .LBB38_82
; %bb.81:
	v_mov_b32_e32 v0, 0
	global_store_dwordx2 v0, v[12:13], s[10:11]
.LBB38_82:
	s_or_b64 exec, exec, s[4:5]
                                        ; implicit-def: $vgpr8_vgpr9_vgpr10_vgpr11
.LBB38_83:
	s_andn2_saveexec_b64 s[2:3], s[2:3]
	s_cbranch_execz .LBB38_85
; %bb.84:
	v_mov_b32_e32 v0, 0
	global_store_dwordx2 v0, v[10:11], s[10:11]
.LBB38_85:
	s_or_b64 exec, exec, s[2:3]
                                        ; implicit-def: $vgpr0_vgpr1
                                        ; implicit-def: $vgpr8_vgpr9_vgpr10_vgpr11
                                        ; implicit-def: $vgpr4_vgpr5_vgpr6_vgpr7
.LBB38_86:
	s_andn2_saveexec_b64 s[0:1], s[0:1]
	s_cbranch_execz .LBB38_94
; %bb.87:
	v_cmp_lt_i64_e32 vcc, 1, v[0:1]
	s_and_saveexec_b64 s[0:1], vcc
	s_xor_b64 s[0:1], exec, s[0:1]
	s_cbranch_execz .LBB38_89
; %bb.88:
	v_mov_b32_e32 v0, 0
	global_store_dwordx2 v0, v[8:9], s[10:11]
                                        ; implicit-def: $vgpr4_vgpr5_vgpr6_vgpr7
                                        ; implicit-def: $vgpr0_vgpr1
.LBB38_89:
	s_andn2_saveexec_b64 s[0:1], s[0:1]
	s_cbranch_execz .LBB38_94
; %bb.90:
	v_cmp_ne_u64_e32 vcc, 1, v[0:1]
	s_and_saveexec_b64 s[0:1], vcc
	s_xor_b64 s[0:1], exec, s[0:1]
	s_cbranch_execz .LBB38_92
; %bb.91:
	v_mov_b32_e32 v0, 0
	global_store_dwordx2 v0, v[4:5], s[10:11]
                                        ; implicit-def: $vgpr4_vgpr5_vgpr6_vgpr7
.LBB38_92:
	s_andn2_saveexec_b64 s[0:1], s[0:1]
	s_cbranch_execz .LBB38_94
; %bb.93:
	v_mov_b32_e32 v0, 0
	global_store_dwordx2 v0, v[6:7], s[10:11]
.LBB38_94:
	s_endpgm
	.section	.rodata,"a",@progbits
	.p2align	6, 0x0
	.amdhsa_kernel _ZN7rocprim17ROCPRIM_304000_NS6detail20lookback_scan_kernelILNS1_25lookback_scan_determinismE0ELb0ENS1_19wrapped_scan_configINS0_14default_configElEEPKlPlSt4plusIlEllNS1_19lookback_scan_stateIlLb0ELb1EEEEEvT2_T3_mT5_T4_T7_jPT6_SK_bb
		.amdhsa_group_segment_fixed_size 12288
		.amdhsa_private_segment_fixed_size 0
		.amdhsa_kernarg_size 76
		.amdhsa_user_sgpr_count 2
		.amdhsa_user_sgpr_dispatch_ptr 0
		.amdhsa_user_sgpr_queue_ptr 0
		.amdhsa_user_sgpr_kernarg_segment_ptr 1
		.amdhsa_user_sgpr_dispatch_id 0
		.amdhsa_user_sgpr_kernarg_preload_length 0
		.amdhsa_user_sgpr_kernarg_preload_offset 0
		.amdhsa_user_sgpr_private_segment_size 0
		.amdhsa_uses_dynamic_stack 0
		.amdhsa_enable_private_segment 0
		.amdhsa_system_sgpr_workgroup_id_x 1
		.amdhsa_system_sgpr_workgroup_id_y 0
		.amdhsa_system_sgpr_workgroup_id_z 0
		.amdhsa_system_sgpr_workgroup_info 0
		.amdhsa_system_vgpr_workitem_id 0
		.amdhsa_next_free_vgpr 52
		.amdhsa_next_free_sgpr 30
		.amdhsa_accum_offset 52
		.amdhsa_reserve_vcc 1
		.amdhsa_float_round_mode_32 0
		.amdhsa_float_round_mode_16_64 0
		.amdhsa_float_denorm_mode_32 3
		.amdhsa_float_denorm_mode_16_64 3
		.amdhsa_dx10_clamp 1
		.amdhsa_ieee_mode 1
		.amdhsa_fp16_overflow 0
		.amdhsa_tg_split 0
		.amdhsa_exception_fp_ieee_invalid_op 0
		.amdhsa_exception_fp_denorm_src 0
		.amdhsa_exception_fp_ieee_div_zero 0
		.amdhsa_exception_fp_ieee_overflow 0
		.amdhsa_exception_fp_ieee_underflow 0
		.amdhsa_exception_fp_ieee_inexact 0
		.amdhsa_exception_int_div_zero 0
	.end_amdhsa_kernel
	.section	.text._ZN7rocprim17ROCPRIM_304000_NS6detail20lookback_scan_kernelILNS1_25lookback_scan_determinismE0ELb0ENS1_19wrapped_scan_configINS0_14default_configElEEPKlPlSt4plusIlEllNS1_19lookback_scan_stateIlLb0ELb1EEEEEvT2_T3_mT5_T4_T7_jPT6_SK_bb,"axG",@progbits,_ZN7rocprim17ROCPRIM_304000_NS6detail20lookback_scan_kernelILNS1_25lookback_scan_determinismE0ELb0ENS1_19wrapped_scan_configINS0_14default_configElEEPKlPlSt4plusIlEllNS1_19lookback_scan_stateIlLb0ELb1EEEEEvT2_T3_mT5_T4_T7_jPT6_SK_bb,comdat
.Lfunc_end38:
	.size	_ZN7rocprim17ROCPRIM_304000_NS6detail20lookback_scan_kernelILNS1_25lookback_scan_determinismE0ELb0ENS1_19wrapped_scan_configINS0_14default_configElEEPKlPlSt4plusIlEllNS1_19lookback_scan_stateIlLb0ELb1EEEEEvT2_T3_mT5_T4_T7_jPT6_SK_bb, .Lfunc_end38-_ZN7rocprim17ROCPRIM_304000_NS6detail20lookback_scan_kernelILNS1_25lookback_scan_determinismE0ELb0ENS1_19wrapped_scan_configINS0_14default_configElEEPKlPlSt4plusIlEllNS1_19lookback_scan_stateIlLb0ELb1EEEEEvT2_T3_mT5_T4_T7_jPT6_SK_bb
                                        ; -- End function
	.set _ZN7rocprim17ROCPRIM_304000_NS6detail20lookback_scan_kernelILNS1_25lookback_scan_determinismE0ELb0ENS1_19wrapped_scan_configINS0_14default_configElEEPKlPlSt4plusIlEllNS1_19lookback_scan_stateIlLb0ELb1EEEEEvT2_T3_mT5_T4_T7_jPT6_SK_bb.num_vgpr, 52
	.set _ZN7rocprim17ROCPRIM_304000_NS6detail20lookback_scan_kernelILNS1_25lookback_scan_determinismE0ELb0ENS1_19wrapped_scan_configINS0_14default_configElEEPKlPlSt4plusIlEllNS1_19lookback_scan_stateIlLb0ELb1EEEEEvT2_T3_mT5_T4_T7_jPT6_SK_bb.num_agpr, 0
	.set _ZN7rocprim17ROCPRIM_304000_NS6detail20lookback_scan_kernelILNS1_25lookback_scan_determinismE0ELb0ENS1_19wrapped_scan_configINS0_14default_configElEEPKlPlSt4plusIlEllNS1_19lookback_scan_stateIlLb0ELb1EEEEEvT2_T3_mT5_T4_T7_jPT6_SK_bb.numbered_sgpr, 30
	.set _ZN7rocprim17ROCPRIM_304000_NS6detail20lookback_scan_kernelILNS1_25lookback_scan_determinismE0ELb0ENS1_19wrapped_scan_configINS0_14default_configElEEPKlPlSt4plusIlEllNS1_19lookback_scan_stateIlLb0ELb1EEEEEvT2_T3_mT5_T4_T7_jPT6_SK_bb.num_named_barrier, 0
	.set _ZN7rocprim17ROCPRIM_304000_NS6detail20lookback_scan_kernelILNS1_25lookback_scan_determinismE0ELb0ENS1_19wrapped_scan_configINS0_14default_configElEEPKlPlSt4plusIlEllNS1_19lookback_scan_stateIlLb0ELb1EEEEEvT2_T3_mT5_T4_T7_jPT6_SK_bb.private_seg_size, 0
	.set _ZN7rocprim17ROCPRIM_304000_NS6detail20lookback_scan_kernelILNS1_25lookback_scan_determinismE0ELb0ENS1_19wrapped_scan_configINS0_14default_configElEEPKlPlSt4plusIlEllNS1_19lookback_scan_stateIlLb0ELb1EEEEEvT2_T3_mT5_T4_T7_jPT6_SK_bb.uses_vcc, 1
	.set _ZN7rocprim17ROCPRIM_304000_NS6detail20lookback_scan_kernelILNS1_25lookback_scan_determinismE0ELb0ENS1_19wrapped_scan_configINS0_14default_configElEEPKlPlSt4plusIlEllNS1_19lookback_scan_stateIlLb0ELb1EEEEEvT2_T3_mT5_T4_T7_jPT6_SK_bb.uses_flat_scratch, 0
	.set _ZN7rocprim17ROCPRIM_304000_NS6detail20lookback_scan_kernelILNS1_25lookback_scan_determinismE0ELb0ENS1_19wrapped_scan_configINS0_14default_configElEEPKlPlSt4plusIlEllNS1_19lookback_scan_stateIlLb0ELb1EEEEEvT2_T3_mT5_T4_T7_jPT6_SK_bb.has_dyn_sized_stack, 0
	.set _ZN7rocprim17ROCPRIM_304000_NS6detail20lookback_scan_kernelILNS1_25lookback_scan_determinismE0ELb0ENS1_19wrapped_scan_configINS0_14default_configElEEPKlPlSt4plusIlEllNS1_19lookback_scan_stateIlLb0ELb1EEEEEvT2_T3_mT5_T4_T7_jPT6_SK_bb.has_recursion, 0
	.set _ZN7rocprim17ROCPRIM_304000_NS6detail20lookback_scan_kernelILNS1_25lookback_scan_determinismE0ELb0ENS1_19wrapped_scan_configINS0_14default_configElEEPKlPlSt4plusIlEllNS1_19lookback_scan_stateIlLb0ELb1EEEEEvT2_T3_mT5_T4_T7_jPT6_SK_bb.has_indirect_call, 0
	.section	.AMDGPU.csdata,"",@progbits
; Kernel info:
; codeLenInByte = 4928
; TotalNumSgprs: 36
; NumVgprs: 52
; NumAgprs: 0
; TotalNumVgprs: 52
; ScratchSize: 0
; MemoryBound: 1
; FloatMode: 240
; IeeeMode: 1
; LDSByteSize: 12288 bytes/workgroup (compile time only)
; SGPRBlocks: 4
; VGPRBlocks: 6
; NumSGPRsForWavesPerEU: 36
; NumVGPRsForWavesPerEU: 52
; AccumOffset: 52
; Occupancy: 8
; WaveLimiterHint : 1
; COMPUTE_PGM_RSRC2:SCRATCH_EN: 0
; COMPUTE_PGM_RSRC2:USER_SGPR: 2
; COMPUTE_PGM_RSRC2:TRAP_HANDLER: 0
; COMPUTE_PGM_RSRC2:TGID_X_EN: 1
; COMPUTE_PGM_RSRC2:TGID_Y_EN: 0
; COMPUTE_PGM_RSRC2:TGID_Z_EN: 0
; COMPUTE_PGM_RSRC2:TIDIG_COMP_CNT: 0
; COMPUTE_PGM_RSRC3_GFX90A:ACCUM_OFFSET: 12
; COMPUTE_PGM_RSRC3_GFX90A:TG_SPLIT: 0
	.section	.text._ZN7rocprim17ROCPRIM_304000_NS6detail16transform_kernelINS1_24wrapped_transform_configINS0_14default_configElEElPlS6_NS0_8identityIlEEEEvT1_mT2_T3_,"axG",@progbits,_ZN7rocprim17ROCPRIM_304000_NS6detail16transform_kernelINS1_24wrapped_transform_configINS0_14default_configElEElPlS6_NS0_8identityIlEEEEvT1_mT2_T3_,comdat
	.protected	_ZN7rocprim17ROCPRIM_304000_NS6detail16transform_kernelINS1_24wrapped_transform_configINS0_14default_configElEElPlS6_NS0_8identityIlEEEEvT1_mT2_T3_ ; -- Begin function _ZN7rocprim17ROCPRIM_304000_NS6detail16transform_kernelINS1_24wrapped_transform_configINS0_14default_configElEElPlS6_NS0_8identityIlEEEEvT1_mT2_T3_
	.globl	_ZN7rocprim17ROCPRIM_304000_NS6detail16transform_kernelINS1_24wrapped_transform_configINS0_14default_configElEElPlS6_NS0_8identityIlEEEEvT1_mT2_T3_
	.p2align	8
	.type	_ZN7rocprim17ROCPRIM_304000_NS6detail16transform_kernelINS1_24wrapped_transform_configINS0_14default_configElEElPlS6_NS0_8identityIlEEEEvT1_mT2_T3_,@function
_ZN7rocprim17ROCPRIM_304000_NS6detail16transform_kernelINS1_24wrapped_transform_configINS0_14default_configElEElPlS6_NS0_8identityIlEEEEvT1_mT2_T3_: ; @_ZN7rocprim17ROCPRIM_304000_NS6detail16transform_kernelINS1_24wrapped_transform_configINS0_14default_configElEElPlS6_NS0_8identityIlEEEEvT1_mT2_T3_
; %bb.0:
	s_load_dword s3, s[0:1], 0x20
	s_load_dwordx4 s[4:7], s[0:1], 0x0
	s_lshl_b32 s8, s2, 7
	s_waitcnt lgkmcnt(0)
	s_add_i32 s3, s3, -1
	s_cmp_lg_u32 s2, s3
	s_cselect_b64 s[2:3], -1, 0
	s_sub_i32 s6, s6, s8
	v_cmp_gt_u32_e32 vcc, s6, v0
	s_or_b64 s[2:3], vcc, s[2:3]
	s_and_saveexec_b64 s[6:7], s[2:3]
	s_cbranch_execz .LBB39_2
; %bb.1:
	s_load_dwordx2 s[0:1], s[0:1], 0x10
	s_mov_b32 s9, 0
	s_lshl_b64 s[2:3], s[8:9], 3
	v_lshlrev_b32_e32 v2, 3, v0
	s_waitcnt lgkmcnt(0)
	s_add_u32 s0, s0, s2
	s_addc_u32 s1, s1, s3
	s_add_u32 s2, s4, s2
	s_addc_u32 s3, s5, s3
	global_load_dwordx2 v[0:1], v2, s[2:3]
	s_waitcnt vmcnt(0)
	global_store_dwordx2 v2, v[0:1], s[0:1]
.LBB39_2:
	s_endpgm
	.section	.rodata,"a",@progbits
	.p2align	6, 0x0
	.amdhsa_kernel _ZN7rocprim17ROCPRIM_304000_NS6detail16transform_kernelINS1_24wrapped_transform_configINS0_14default_configElEElPlS6_NS0_8identityIlEEEEvT1_mT2_T3_
		.amdhsa_group_segment_fixed_size 0
		.amdhsa_private_segment_fixed_size 0
		.amdhsa_kernarg_size 288
		.amdhsa_user_sgpr_count 2
		.amdhsa_user_sgpr_dispatch_ptr 0
		.amdhsa_user_sgpr_queue_ptr 0
		.amdhsa_user_sgpr_kernarg_segment_ptr 1
		.amdhsa_user_sgpr_dispatch_id 0
		.amdhsa_user_sgpr_kernarg_preload_length 0
		.amdhsa_user_sgpr_kernarg_preload_offset 0
		.amdhsa_user_sgpr_private_segment_size 0
		.amdhsa_uses_dynamic_stack 0
		.amdhsa_enable_private_segment 0
		.amdhsa_system_sgpr_workgroup_id_x 1
		.amdhsa_system_sgpr_workgroup_id_y 0
		.amdhsa_system_sgpr_workgroup_id_z 0
		.amdhsa_system_sgpr_workgroup_info 0
		.amdhsa_system_vgpr_workitem_id 0
		.amdhsa_next_free_vgpr 3
		.amdhsa_next_free_sgpr 10
		.amdhsa_accum_offset 4
		.amdhsa_reserve_vcc 1
		.amdhsa_float_round_mode_32 0
		.amdhsa_float_round_mode_16_64 0
		.amdhsa_float_denorm_mode_32 3
		.amdhsa_float_denorm_mode_16_64 3
		.amdhsa_dx10_clamp 1
		.amdhsa_ieee_mode 1
		.amdhsa_fp16_overflow 0
		.amdhsa_tg_split 0
		.amdhsa_exception_fp_ieee_invalid_op 0
		.amdhsa_exception_fp_denorm_src 0
		.amdhsa_exception_fp_ieee_div_zero 0
		.amdhsa_exception_fp_ieee_overflow 0
		.amdhsa_exception_fp_ieee_underflow 0
		.amdhsa_exception_fp_ieee_inexact 0
		.amdhsa_exception_int_div_zero 0
	.end_amdhsa_kernel
	.section	.text._ZN7rocprim17ROCPRIM_304000_NS6detail16transform_kernelINS1_24wrapped_transform_configINS0_14default_configElEElPlS6_NS0_8identityIlEEEEvT1_mT2_T3_,"axG",@progbits,_ZN7rocprim17ROCPRIM_304000_NS6detail16transform_kernelINS1_24wrapped_transform_configINS0_14default_configElEElPlS6_NS0_8identityIlEEEEvT1_mT2_T3_,comdat
.Lfunc_end39:
	.size	_ZN7rocprim17ROCPRIM_304000_NS6detail16transform_kernelINS1_24wrapped_transform_configINS0_14default_configElEElPlS6_NS0_8identityIlEEEEvT1_mT2_T3_, .Lfunc_end39-_ZN7rocprim17ROCPRIM_304000_NS6detail16transform_kernelINS1_24wrapped_transform_configINS0_14default_configElEElPlS6_NS0_8identityIlEEEEvT1_mT2_T3_
                                        ; -- End function
	.set _ZN7rocprim17ROCPRIM_304000_NS6detail16transform_kernelINS1_24wrapped_transform_configINS0_14default_configElEElPlS6_NS0_8identityIlEEEEvT1_mT2_T3_.num_vgpr, 3
	.set _ZN7rocprim17ROCPRIM_304000_NS6detail16transform_kernelINS1_24wrapped_transform_configINS0_14default_configElEElPlS6_NS0_8identityIlEEEEvT1_mT2_T3_.num_agpr, 0
	.set _ZN7rocprim17ROCPRIM_304000_NS6detail16transform_kernelINS1_24wrapped_transform_configINS0_14default_configElEElPlS6_NS0_8identityIlEEEEvT1_mT2_T3_.numbered_sgpr, 10
	.set _ZN7rocprim17ROCPRIM_304000_NS6detail16transform_kernelINS1_24wrapped_transform_configINS0_14default_configElEElPlS6_NS0_8identityIlEEEEvT1_mT2_T3_.num_named_barrier, 0
	.set _ZN7rocprim17ROCPRIM_304000_NS6detail16transform_kernelINS1_24wrapped_transform_configINS0_14default_configElEElPlS6_NS0_8identityIlEEEEvT1_mT2_T3_.private_seg_size, 0
	.set _ZN7rocprim17ROCPRIM_304000_NS6detail16transform_kernelINS1_24wrapped_transform_configINS0_14default_configElEElPlS6_NS0_8identityIlEEEEvT1_mT2_T3_.uses_vcc, 1
	.set _ZN7rocprim17ROCPRIM_304000_NS6detail16transform_kernelINS1_24wrapped_transform_configINS0_14default_configElEElPlS6_NS0_8identityIlEEEEvT1_mT2_T3_.uses_flat_scratch, 0
	.set _ZN7rocprim17ROCPRIM_304000_NS6detail16transform_kernelINS1_24wrapped_transform_configINS0_14default_configElEElPlS6_NS0_8identityIlEEEEvT1_mT2_T3_.has_dyn_sized_stack, 0
	.set _ZN7rocprim17ROCPRIM_304000_NS6detail16transform_kernelINS1_24wrapped_transform_configINS0_14default_configElEElPlS6_NS0_8identityIlEEEEvT1_mT2_T3_.has_recursion, 0
	.set _ZN7rocprim17ROCPRIM_304000_NS6detail16transform_kernelINS1_24wrapped_transform_configINS0_14default_configElEElPlS6_NS0_8identityIlEEEEvT1_mT2_T3_.has_indirect_call, 0
	.section	.AMDGPU.csdata,"",@progbits
; Kernel info:
; codeLenInByte = 120
; TotalNumSgprs: 16
; NumVgprs: 3
; NumAgprs: 0
; TotalNumVgprs: 3
; ScratchSize: 0
; MemoryBound: 0
; FloatMode: 240
; IeeeMode: 1
; LDSByteSize: 0 bytes/workgroup (compile time only)
; SGPRBlocks: 1
; VGPRBlocks: 0
; NumSGPRsForWavesPerEU: 16
; NumVGPRsForWavesPerEU: 3
; AccumOffset: 4
; Occupancy: 8
; WaveLimiterHint : 0
; COMPUTE_PGM_RSRC2:SCRATCH_EN: 0
; COMPUTE_PGM_RSRC2:USER_SGPR: 2
; COMPUTE_PGM_RSRC2:TRAP_HANDLER: 0
; COMPUTE_PGM_RSRC2:TGID_X_EN: 1
; COMPUTE_PGM_RSRC2:TGID_Y_EN: 0
; COMPUTE_PGM_RSRC2:TGID_Z_EN: 0
; COMPUTE_PGM_RSRC2:TIDIG_COMP_CNT: 0
; COMPUTE_PGM_RSRC3_GFX90A:ACCUM_OFFSET: 0
; COMPUTE_PGM_RSRC3_GFX90A:TG_SPLIT: 0
	.section	.text._ZN7rocprim17ROCPRIM_304000_NS6detail18single_scan_kernelILb0ENS1_19wrapped_scan_configINS0_14default_configElEEPKlPlSt4plusIlEllEEvT1_mT4_T2_T3_,"axG",@progbits,_ZN7rocprim17ROCPRIM_304000_NS6detail18single_scan_kernelILb0ENS1_19wrapped_scan_configINS0_14default_configElEEPKlPlSt4plusIlEllEEvT1_mT4_T2_T3_,comdat
	.protected	_ZN7rocprim17ROCPRIM_304000_NS6detail18single_scan_kernelILb0ENS1_19wrapped_scan_configINS0_14default_configElEEPKlPlSt4plusIlEllEEvT1_mT4_T2_T3_ ; -- Begin function _ZN7rocprim17ROCPRIM_304000_NS6detail18single_scan_kernelILb0ENS1_19wrapped_scan_configINS0_14default_configElEEPKlPlSt4plusIlEllEEvT1_mT4_T2_T3_
	.globl	_ZN7rocprim17ROCPRIM_304000_NS6detail18single_scan_kernelILb0ENS1_19wrapped_scan_configINS0_14default_configElEEPKlPlSt4plusIlEllEEvT1_mT4_T2_T3_
	.p2align	8
	.type	_ZN7rocprim17ROCPRIM_304000_NS6detail18single_scan_kernelILb0ENS1_19wrapped_scan_configINS0_14default_configElEEPKlPlSt4plusIlEllEEvT1_mT4_T2_T3_,@function
_ZN7rocprim17ROCPRIM_304000_NS6detail18single_scan_kernelILb0ENS1_19wrapped_scan_configINS0_14default_configElEEPKlPlSt4plusIlEllEEvT1_mT4_T2_T3_: ; @_ZN7rocprim17ROCPRIM_304000_NS6detail18single_scan_kernelILb0ENS1_19wrapped_scan_configINS0_14default_configElEEPKlPlSt4plusIlEllEEvT1_mT4_T2_T3_
; %bb.0:
	s_load_dwordx4 s[16:19], s[0:1], 0x0
	v_mov_b32_e32 v19, 0
	v_lshlrev_b32_e32 v18, 3, v0
	s_waitcnt lgkmcnt(0)
	s_load_dwordx2 s[4:5], s[16:17], 0x0
	v_lshl_add_u64 v[20:21], s[16:17], 0, v[18:19]
	v_cmp_gt_u32_e64 s[2:3], s18, v0
	s_waitcnt lgkmcnt(0)
	s_mov_b32 s6, s4
	s_mov_b32 s7, s5
	;; [unrolled: 1-line block ×10, first 2 shown]
	v_mov_b64_e32 v[2:3], s[4:5]
	v_mov_b64_e32 v[4:5], s[6:7]
	;; [unrolled: 1-line block ×8, first 2 shown]
	s_and_saveexec_b64 s[6:7], s[2:3]
	s_cbranch_execz .LBB40_2
; %bb.1:
	global_load_dwordx2 v[2:3], v[20:21], off
	v_mov_b32_e32 v4, s4
	v_mov_b32_e32 v5, s5
	;; [unrolled: 1-line block ×10, first 2 shown]
.LBB40_2:
	s_or_b64 exec, exec, s[6:7]
	v_or_b32_e32 v1, 0x100, v0
	v_cmp_gt_u32_e64 s[4:5], s18, v1
	s_and_saveexec_b64 s[6:7], s[4:5]
	s_cbranch_execz .LBB40_4
; %bb.3:
	global_load_dwordx2 v[4:5], v[20:21], off offset:2048
.LBB40_4:
	s_or_b64 exec, exec, s[6:7]
	v_or_b32_e32 v1, 0x200, v0
	v_cmp_gt_u32_e64 s[6:7], s18, v1
	s_and_saveexec_b64 s[8:9], s[6:7]
	s_cbranch_execz .LBB40_6
; %bb.5:
	v_add_co_u32_e32 v6, vcc, 0x1000, v20
	s_nop 1
	v_addc_co_u32_e32 v7, vcc, 0, v21, vcc
	global_load_dwordx2 v[6:7], v[6:7], off
.LBB40_6:
	s_or_b64 exec, exec, s[8:9]
	v_or_b32_e32 v1, 0x300, v0
	v_cmp_gt_u32_e64 s[8:9], s18, v1
	s_and_saveexec_b64 s[10:11], s[8:9]
	s_cbranch_execz .LBB40_8
; %bb.7:
	v_add_co_u32_e32 v8, vcc, 0x1000, v20
	s_nop 1
	v_addc_co_u32_e32 v9, vcc, 0, v21, vcc
	global_load_dwordx2 v[8:9], v[8:9], off offset:2048
.LBB40_8:
	s_or_b64 exec, exec, s[10:11]
	v_or_b32_e32 v1, 0x400, v0
	v_cmp_gt_u32_e64 s[10:11], s18, v1
	s_and_saveexec_b64 s[12:13], s[10:11]
	s_cbranch_execz .LBB40_10
; %bb.9:
	v_add_co_u32_e32 v10, vcc, 0x2000, v20
	s_nop 1
	v_addc_co_u32_e32 v11, vcc, 0, v21, vcc
	global_load_dwordx2 v[10:11], v[10:11], off
.LBB40_10:
	s_or_b64 exec, exec, s[12:13]
	v_or_b32_e32 v1, 0x500, v0
	v_cmp_gt_u32_e64 s[12:13], s18, v1
	s_and_saveexec_b64 s[14:15], s[12:13]
	s_cbranch_execz .LBB40_12
; %bb.11:
	v_add_co_u32_e32 v12, vcc, 0x2000, v20
	s_nop 1
	v_addc_co_u32_e32 v13, vcc, 0, v21, vcc
	global_load_dwordx2 v[12:13], v[12:13], off offset:2048
.LBB40_12:
	s_or_b64 exec, exec, s[14:15]
	v_mad_u32_u24 v1, v0, 40, v18
	s_waitcnt vmcnt(0)
	ds_write2st64_b64 v18, v[2:3], v[4:5] offset1:4
	ds_write2st64_b64 v18, v[6:7], v[8:9] offset0:8 offset1:12
	ds_write2st64_b64 v18, v[10:11], v[12:13] offset0:16 offset1:20
	s_waitcnt lgkmcnt(0)
	s_barrier
	ds_read_b128 v[10:13], v1
	ds_read_b128 v[6:9], v1 offset:16
	ds_read_b128 v[2:5], v1 offset:32
	v_mbcnt_lo_u32_b32 v1, -1, 0
	v_mov_b32_e32 v20, 0
	s_waitcnt lgkmcnt(2)
	v_lshl_add_u64 v[14:15], v[12:13], 0, v[10:11]
	s_waitcnt lgkmcnt(1)
	v_lshl_add_u64 v[14:15], v[14:15], 0, v[6:7]
	v_lshl_add_u64 v[14:15], v[14:15], 0, v[8:9]
	s_waitcnt lgkmcnt(0)
	v_lshl_add_u64 v[14:15], v[14:15], 0, v[2:3]
	v_lshl_add_u64 v[14:15], v[14:15], 0, v[4:5]
	v_mbcnt_hi_u32_b32 v1, -1, v1
	v_mov_b32_e32 v17, v20
	v_mov_b32_dpp v16, v14 row_shr:1 row_mask:0xf bank_mask:0xf
	v_and_b32_e32 v19, 15, v1
	v_mov_b32_dpp v21, v15 row_shr:1 row_mask:0xf bank_mask:0xf
	v_lshl_add_u64 v[16:17], v[14:15], 0, v[16:17]
	v_lshl_add_u64 v[20:21], v[20:21], 0, v[16:17]
	v_cmp_eq_u32_e32 vcc, 0, v19
	v_cmp_ne_u32_e64 s[16:17], 0, v1
	s_nop 0
	v_cndmask_b32_e32 v22, v16, v14, vcc
	v_cndmask_b32_e32 v17, v21, v15, vcc
	v_cndmask_b32_e32 v16, v20, v14, vcc
	v_mov_b32_dpp v20, v22 row_shr:2 row_mask:0xf bank_mask:0xf
	v_mov_b32_dpp v21, v17 row_shr:2 row_mask:0xf bank_mask:0xf
	v_lshl_add_u64 v[20:21], v[20:21], 0, v[16:17]
	v_cmp_lt_u32_e32 vcc, 1, v19
	s_barrier
	s_nop 0
	v_cndmask_b32_e32 v22, v22, v20, vcc
	v_cndmask_b32_e32 v17, v17, v21, vcc
	;; [unrolled: 1-line block ×3, first 2 shown]
	v_mov_b32_dpp v20, v22 row_shr:4 row_mask:0xf bank_mask:0xf
	v_mov_b32_dpp v21, v17 row_shr:4 row_mask:0xf bank_mask:0xf
	v_lshl_add_u64 v[20:21], v[20:21], 0, v[16:17]
	v_cmp_lt_u32_e32 vcc, 3, v19
	s_nop 1
	v_cndmask_b32_e32 v22, v22, v20, vcc
	v_cndmask_b32_e32 v17, v17, v21, vcc
	;; [unrolled: 1-line block ×3, first 2 shown]
	v_mov_b32_dpp v20, v22 row_shr:8 row_mask:0xf bank_mask:0xf
	v_mov_b32_dpp v21, v17 row_shr:8 row_mask:0xf bank_mask:0xf
	v_lshl_add_u64 v[20:21], v[20:21], 0, v[16:17]
	v_cmp_lt_u32_e32 vcc, 7, v19
	s_nop 1
	v_cndmask_b32_e32 v19, v22, v20, vcc
	v_cndmask_b32_e32 v17, v17, v21, vcc
	;; [unrolled: 1-line block ×3, first 2 shown]
	v_mov_b32_dpp v20, v19 row_bcast:15 row_mask:0xf bank_mask:0xf
	v_mov_b32_dpp v21, v17 row_bcast:15 row_mask:0xf bank_mask:0xf
	v_and_b32_e32 v22, 16, v1
	v_lshl_add_u64 v[20:21], v[20:21], 0, v[16:17]
	v_cmp_eq_u32_e64 s[14:15], 0, v22
	v_cmp_eq_u32_e32 vcc, 0, v1
	s_nop 0
	v_cndmask_b32_e64 v22, v21, v17, s[14:15]
	v_cndmask_b32_e64 v19, v20, v19, s[14:15]
	s_nop 0
	v_mov_b32_dpp v22, v22 row_bcast:31 row_mask:0xf bank_mask:0xf
	v_mov_b32_dpp v19, v19 row_bcast:31 row_mask:0xf bank_mask:0xf
	s_and_saveexec_b64 s[18:19], s[16:17]
; %bb.13:
	v_cndmask_b32_e64 v15, v21, v17, s[14:15]
	v_cndmask_b32_e64 v14, v20, v16, s[14:15]
	v_cmp_lt_u32_e64 s[14:15], 31, v1
	s_nop 1
	v_cndmask_b32_e64 v17, 0, v22, s[14:15]
	v_cndmask_b32_e64 v16, 0, v19, s[14:15]
	v_lshl_add_u64 v[14:15], v[16:17], 0, v[14:15]
; %bb.14:
	s_or_b64 exec, exec, s[18:19]
	v_or_b32_e32 v16, 63, v0
	v_lshrrev_b32_e32 v19, 6, v0
	v_cmp_eq_u32_e64 s[14:15], v0, v16
	s_and_saveexec_b64 s[16:17], s[14:15]
; %bb.15:
	v_lshlrev_b32_e32 v16, 3, v19
	ds_write_b64 v16, v[14:15]
; %bb.16:
	s_or_b64 exec, exec, s[16:17]
	v_cmp_gt_u32_e64 s[14:15], 4, v0
	s_waitcnt lgkmcnt(0)
	s_barrier
	s_and_saveexec_b64 s[16:17], s[14:15]
	s_cbranch_execz .LBB40_18
; %bb.17:
	ds_read_b64 v[16:17], v18
	v_mov_b32_e32 v20, 0
	v_mov_b32_e32 v23, v20
	v_and_b32_e32 v24, 3, v1
	v_cmp_eq_u32_e64 s[14:15], 0, v24
	s_waitcnt lgkmcnt(0)
	v_mov_b32_dpp v22, v16 row_shr:1 row_mask:0xf bank_mask:0xf
	v_mov_b32_dpp v21, v17 row_shr:1 row_mask:0xf bank_mask:0xf
	v_lshl_add_u64 v[22:23], v[16:17], 0, v[22:23]
	v_lshl_add_u64 v[20:21], v[20:21], 0, v[22:23]
	v_cndmask_b32_e64 v21, v21, v17, s[14:15]
	v_cndmask_b32_e64 v20, v20, v16, s[14:15]
	;; [unrolled: 1-line block ×3, first 2 shown]
	v_mov_b32_dpp v17, v21 row_shr:2 row_mask:0xf bank_mask:0xf
	v_cmp_lt_u32_e64 s[14:15], 1, v24
	v_mov_b32_dpp v16, v16 row_shr:2 row_mask:0xf bank_mask:0xf
	s_nop 0
	v_cndmask_b32_e64 v16, 0, v16, s[14:15]
	v_cndmask_b32_e64 v17, 0, v17, s[14:15]
	v_lshl_add_u64 v[16:17], v[16:17], 0, v[20:21]
	ds_write_b64 v18, v[16:17]
.LBB40_18:
	s_or_b64 exec, exec, s[16:17]
	v_mul_u32_u24_e32 v20, 40, v0
	v_cmp_lt_u32_e64 s[14:15], 63, v0
	s_waitcnt lgkmcnt(0)
	s_barrier
                                        ; implicit-def: $vgpr16_vgpr17
	s_and_saveexec_b64 s[16:17], s[14:15]
	s_cbranch_execz .LBB40_20
; %bb.19:
	v_lshl_add_u32 v16, v19, 3, -8
	ds_read_b64 v[16:17], v16
	s_waitcnt lgkmcnt(0)
	v_lshl_add_u64 v[14:15], v[16:17], 0, v[14:15]
.LBB40_20:
	s_or_b64 exec, exec, s[16:17]
	v_add_u32_e32 v19, -1, v1
	v_and_b32_e32 v21, 64, v1
	v_cmp_lt_i32_e64 s[14:15], v19, v21
	s_load_dwordx2 s[0:1], s[0:1], 0x18
	s_waitcnt lgkmcnt(0)
	v_cndmask_b32_e64 v1, v19, v1, s[14:15]
	v_lshlrev_b32_e32 v1, 2, v1
	ds_bpermute_b32 v14, v1, v14
	ds_bpermute_b32 v1, v1, v15
	s_barrier
	s_waitcnt lgkmcnt(0)
	v_cndmask_b32_e32 v14, v14, v16, vcc
	v_cndmask_b32_e32 v1, v1, v17, vcc
	v_cmp_ne_u32_e32 vcc, 0, v0
	v_lshlrev_b32_e32 v0, 3, v0
	s_nop 0
	v_cndmask_b32_e32 v15, 0, v1, vcc
	v_cndmask_b32_e32 v14, 0, v14, vcc
	v_lshl_add_u64 v[10:11], v[14:15], 0, v[10:11]
	v_lshl_add_u64 v[12:13], v[10:11], 0, v[12:13]
	;; [unrolled: 1-line block ×6, first 2 shown]
	v_add_u32_e32 v1, v18, v20
	ds_write_b128 v1, v[10:13]
	ds_write_b128 v1, v[6:9] offset:16
	ds_write_b128 v1, v[2:5] offset:32
	s_waitcnt lgkmcnt(0)
	s_barrier
	ds_read2st64_b64 v[6:9], v18 offset0:4 offset1:8
	ds_read2st64_b64 v[2:5], v18 offset0:12 offset1:16
	ds_read_b64 v[10:11], v18 offset:10240
	v_mov_b32_e32 v1, 0
	v_lshl_add_u64 v[0:1], s[0:1], 0, v[0:1]
	s_and_saveexec_b64 s[0:1], s[2:3]
	s_cbranch_execnz .LBB40_27
; %bb.21:
	s_or_b64 exec, exec, s[0:1]
	s_and_saveexec_b64 s[0:1], s[4:5]
	s_cbranch_execnz .LBB40_28
.LBB40_22:
	s_or_b64 exec, exec, s[0:1]
	s_and_saveexec_b64 s[0:1], s[6:7]
	s_cbranch_execnz .LBB40_29
.LBB40_23:
	s_or_b64 exec, exec, s[0:1]
	s_and_saveexec_b64 s[0:1], s[8:9]
	s_cbranch_execnz .LBB40_30
.LBB40_24:
	s_or_b64 exec, exec, s[0:1]
	s_and_saveexec_b64 s[0:1], s[10:11]
	s_cbranch_execnz .LBB40_31
.LBB40_25:
	s_or_b64 exec, exec, s[0:1]
	s_and_saveexec_b64 s[0:1], s[12:13]
	s_cbranch_execnz .LBB40_32
.LBB40_26:
	s_endpgm
.LBB40_27:
	ds_read_b64 v[12:13], v18
	s_waitcnt lgkmcnt(0)
	global_store_dwordx2 v[0:1], v[12:13], off
	s_or_b64 exec, exec, s[0:1]
	s_and_saveexec_b64 s[0:1], s[4:5]
	s_cbranch_execz .LBB40_22
.LBB40_28:
	s_waitcnt lgkmcnt(2)
	global_store_dwordx2 v[0:1], v[6:7], off offset:2048
	s_or_b64 exec, exec, s[0:1]
	s_and_saveexec_b64 s[0:1], s[6:7]
	s_cbranch_execz .LBB40_23
.LBB40_29:
	s_waitcnt lgkmcnt(2)
	v_add_co_u32_e32 v6, vcc, 0x1000, v0
	s_nop 1
	v_addc_co_u32_e32 v7, vcc, 0, v1, vcc
	global_store_dwordx2 v[6:7], v[8:9], off
	s_or_b64 exec, exec, s[0:1]
	s_and_saveexec_b64 s[0:1], s[8:9]
	s_cbranch_execz .LBB40_24
.LBB40_30:
	s_waitcnt lgkmcnt(2)
	v_add_co_u32_e32 v6, vcc, 0x1000, v0
	s_nop 1
	v_addc_co_u32_e32 v7, vcc, 0, v1, vcc
	s_waitcnt lgkmcnt(1)
	global_store_dwordx2 v[6:7], v[2:3], off offset:2048
	s_or_b64 exec, exec, s[0:1]
	s_and_saveexec_b64 s[0:1], s[10:11]
	s_cbranch_execz .LBB40_25
.LBB40_31:
	s_waitcnt lgkmcnt(1)
	v_add_co_u32_e32 v2, vcc, 0x2000, v0
	s_nop 1
	v_addc_co_u32_e32 v3, vcc, 0, v1, vcc
	global_store_dwordx2 v[2:3], v[4:5], off
	s_or_b64 exec, exec, s[0:1]
	s_and_saveexec_b64 s[0:1], s[12:13]
	s_cbranch_execz .LBB40_26
.LBB40_32:
	v_add_co_u32_e32 v0, vcc, 0x2000, v0
	s_nop 1
	v_addc_co_u32_e32 v1, vcc, 0, v1, vcc
	s_waitcnt lgkmcnt(0)
	global_store_dwordx2 v[0:1], v[10:11], off offset:2048
	s_endpgm
	.section	.rodata,"a",@progbits
	.p2align	6, 0x0
	.amdhsa_kernel _ZN7rocprim17ROCPRIM_304000_NS6detail18single_scan_kernelILb0ENS1_19wrapped_scan_configINS0_14default_configElEEPKlPlSt4plusIlEllEEvT1_mT4_T2_T3_
		.amdhsa_group_segment_fixed_size 12288
		.amdhsa_private_segment_fixed_size 0
		.amdhsa_kernarg_size 36
		.amdhsa_user_sgpr_count 2
		.amdhsa_user_sgpr_dispatch_ptr 0
		.amdhsa_user_sgpr_queue_ptr 0
		.amdhsa_user_sgpr_kernarg_segment_ptr 1
		.amdhsa_user_sgpr_dispatch_id 0
		.amdhsa_user_sgpr_kernarg_preload_length 0
		.amdhsa_user_sgpr_kernarg_preload_offset 0
		.amdhsa_user_sgpr_private_segment_size 0
		.amdhsa_uses_dynamic_stack 0
		.amdhsa_enable_private_segment 0
		.amdhsa_system_sgpr_workgroup_id_x 1
		.amdhsa_system_sgpr_workgroup_id_y 0
		.amdhsa_system_sgpr_workgroup_id_z 0
		.amdhsa_system_sgpr_workgroup_info 0
		.amdhsa_system_vgpr_workitem_id 0
		.amdhsa_next_free_vgpr 25
		.amdhsa_next_free_sgpr 20
		.amdhsa_accum_offset 28
		.amdhsa_reserve_vcc 1
		.amdhsa_float_round_mode_32 0
		.amdhsa_float_round_mode_16_64 0
		.amdhsa_float_denorm_mode_32 3
		.amdhsa_float_denorm_mode_16_64 3
		.amdhsa_dx10_clamp 1
		.amdhsa_ieee_mode 1
		.amdhsa_fp16_overflow 0
		.amdhsa_tg_split 0
		.amdhsa_exception_fp_ieee_invalid_op 0
		.amdhsa_exception_fp_denorm_src 0
		.amdhsa_exception_fp_ieee_div_zero 0
		.amdhsa_exception_fp_ieee_overflow 0
		.amdhsa_exception_fp_ieee_underflow 0
		.amdhsa_exception_fp_ieee_inexact 0
		.amdhsa_exception_int_div_zero 0
	.end_amdhsa_kernel
	.section	.text._ZN7rocprim17ROCPRIM_304000_NS6detail18single_scan_kernelILb0ENS1_19wrapped_scan_configINS0_14default_configElEEPKlPlSt4plusIlEllEEvT1_mT4_T2_T3_,"axG",@progbits,_ZN7rocprim17ROCPRIM_304000_NS6detail18single_scan_kernelILb0ENS1_19wrapped_scan_configINS0_14default_configElEEPKlPlSt4plusIlEllEEvT1_mT4_T2_T3_,comdat
.Lfunc_end40:
	.size	_ZN7rocprim17ROCPRIM_304000_NS6detail18single_scan_kernelILb0ENS1_19wrapped_scan_configINS0_14default_configElEEPKlPlSt4plusIlEllEEvT1_mT4_T2_T3_, .Lfunc_end40-_ZN7rocprim17ROCPRIM_304000_NS6detail18single_scan_kernelILb0ENS1_19wrapped_scan_configINS0_14default_configElEEPKlPlSt4plusIlEllEEvT1_mT4_T2_T3_
                                        ; -- End function
	.set _ZN7rocprim17ROCPRIM_304000_NS6detail18single_scan_kernelILb0ENS1_19wrapped_scan_configINS0_14default_configElEEPKlPlSt4plusIlEllEEvT1_mT4_T2_T3_.num_vgpr, 25
	.set _ZN7rocprim17ROCPRIM_304000_NS6detail18single_scan_kernelILb0ENS1_19wrapped_scan_configINS0_14default_configElEEPKlPlSt4plusIlEllEEvT1_mT4_T2_T3_.num_agpr, 0
	.set _ZN7rocprim17ROCPRIM_304000_NS6detail18single_scan_kernelILb0ENS1_19wrapped_scan_configINS0_14default_configElEEPKlPlSt4plusIlEllEEvT1_mT4_T2_T3_.numbered_sgpr, 20
	.set _ZN7rocprim17ROCPRIM_304000_NS6detail18single_scan_kernelILb0ENS1_19wrapped_scan_configINS0_14default_configElEEPKlPlSt4plusIlEllEEvT1_mT4_T2_T3_.num_named_barrier, 0
	.set _ZN7rocprim17ROCPRIM_304000_NS6detail18single_scan_kernelILb0ENS1_19wrapped_scan_configINS0_14default_configElEEPKlPlSt4plusIlEllEEvT1_mT4_T2_T3_.private_seg_size, 0
	.set _ZN7rocprim17ROCPRIM_304000_NS6detail18single_scan_kernelILb0ENS1_19wrapped_scan_configINS0_14default_configElEEPKlPlSt4plusIlEllEEvT1_mT4_T2_T3_.uses_vcc, 1
	.set _ZN7rocprim17ROCPRIM_304000_NS6detail18single_scan_kernelILb0ENS1_19wrapped_scan_configINS0_14default_configElEEPKlPlSt4plusIlEllEEvT1_mT4_T2_T3_.uses_flat_scratch, 0
	.set _ZN7rocprim17ROCPRIM_304000_NS6detail18single_scan_kernelILb0ENS1_19wrapped_scan_configINS0_14default_configElEEPKlPlSt4plusIlEllEEvT1_mT4_T2_T3_.has_dyn_sized_stack, 0
	.set _ZN7rocprim17ROCPRIM_304000_NS6detail18single_scan_kernelILb0ENS1_19wrapped_scan_configINS0_14default_configElEEPKlPlSt4plusIlEllEEvT1_mT4_T2_T3_.has_recursion, 0
	.set _ZN7rocprim17ROCPRIM_304000_NS6detail18single_scan_kernelILb0ENS1_19wrapped_scan_configINS0_14default_configElEEPKlPlSt4plusIlEllEEvT1_mT4_T2_T3_.has_indirect_call, 0
	.section	.AMDGPU.csdata,"",@progbits
; Kernel info:
; codeLenInByte = 1676
; TotalNumSgprs: 26
; NumVgprs: 25
; NumAgprs: 0
; TotalNumVgprs: 25
; ScratchSize: 0
; MemoryBound: 1
; FloatMode: 240
; IeeeMode: 1
; LDSByteSize: 12288 bytes/workgroup (compile time only)
; SGPRBlocks: 3
; VGPRBlocks: 3
; NumSGPRsForWavesPerEU: 26
; NumVGPRsForWavesPerEU: 25
; AccumOffset: 28
; Occupancy: 8
; WaveLimiterHint : 0
; COMPUTE_PGM_RSRC2:SCRATCH_EN: 0
; COMPUTE_PGM_RSRC2:USER_SGPR: 2
; COMPUTE_PGM_RSRC2:TRAP_HANDLER: 0
; COMPUTE_PGM_RSRC2:TGID_X_EN: 1
; COMPUTE_PGM_RSRC2:TGID_Y_EN: 0
; COMPUTE_PGM_RSRC2:TGID_Z_EN: 0
; COMPUTE_PGM_RSRC2:TIDIG_COMP_CNT: 0
; COMPUTE_PGM_RSRC3_GFX90A:ACCUM_OFFSET: 6
; COMPUTE_PGM_RSRC3_GFX90A:TG_SPLIT: 0
	.section	.text._ZN2at6native32tensor_kernel_scan_innermost_dimIlSt4plusIlEEEvPT_PKS4_jjjS4_T0_,"axG",@progbits,_ZN2at6native32tensor_kernel_scan_innermost_dimIlSt4plusIlEEEvPT_PKS4_jjjS4_T0_,comdat
	.protected	_ZN2at6native32tensor_kernel_scan_innermost_dimIlSt4plusIlEEEvPT_PKS4_jjjS4_T0_ ; -- Begin function _ZN2at6native32tensor_kernel_scan_innermost_dimIlSt4plusIlEEEvPT_PKS4_jjjS4_T0_
	.globl	_ZN2at6native32tensor_kernel_scan_innermost_dimIlSt4plusIlEEEvPT_PKS4_jjjS4_T0_
	.p2align	8
	.type	_ZN2at6native32tensor_kernel_scan_innermost_dimIlSt4plusIlEEEvPT_PKS4_jjjS4_T0_,@function
_ZN2at6native32tensor_kernel_scan_innermost_dimIlSt4plusIlEEEvPT_PKS4_jjjS4_T0_: ; @_ZN2at6native32tensor_kernel_scan_innermost_dimIlSt4plusIlEEEvPT_PKS4_jjjS4_T0_
; %bb.0:
	s_load_dwordx8 s[12:19], s[0:1], 0x0
	s_load_dwordx2 s[20:21], s[0:1], 0x20
	v_bfe_u32 v2, v0, 10, 10
	s_waitcnt lgkmcnt(0)
	s_lshl_b32 s3, 2, s18
	v_mul_lo_u32 v1, s3, v2
	s_mul_hi_u32 s4, s16, s17
	v_lshl_add_u32 v18, v1, 3, 0
	s_cmp_lg_u32 s4, 0
	s_mov_b64 s[4:5], -1
	s_cbranch_scc1 .LBB41_26
; %bb.1:
	s_load_dword s6, s[0:1], 0x3c
	s_add_u32 s4, s0, 48
	s_addc_u32 s5, s1, 0
	s_waitcnt lgkmcnt(0)
	s_lshr_b32 s6, s6, 16
	s_mul_i32 s19, s2, s6
	s_cmp_ge_u32 s19, s16
	s_cbranch_scc1 .LBB41_25
; %bb.2:
	s_load_dword s27, s[4:5], 0x0
	s_lshl_b32 s26, 1, s18
	s_cmp_lg_u32 s17, 0
	s_cselect_b64 s[10:11], -1, 0
	v_and_b32_e32 v1, 0x3ff, v0
	v_lshl_add_u32 v3, v1, 3, v18
	s_lshl_b32 s4, s3, 3
	v_cndmask_b32_e64 v4, 0, 1, s[10:11]
	v_lshl_add_u32 v16, s26, 3, v3
	v_cmp_eq_u32_e64 s[8:9], 0, v1
	v_add3_u32 v17, v18, s4, -8
	s_waitcnt lgkmcnt(0)
	s_mul_i32 s27, s27, s6
	s_add_i32 s28, s18, 1
	v_cmp_ne_u32_e64 s[4:5], 1, v4
	v_mov_b32_e32 v5, 0
	s_branch .LBB41_4
.LBB41_3:                               ;   in Loop: Header=BB41_4 Depth=1
	s_add_i32 s19, s19, s27
	s_cmp_ge_u32 s19, s16
	s_cbranch_scc1 .LBB41_25
.LBB41_4:                               ; =>This Loop Header: Depth=1
                                        ;     Child Loop BB41_7 Depth 2
                                        ;       Child Loop BB41_16 Depth 3
	s_and_b64 vcc, exec, s[4:5]
	s_cbranch_vccnz .LBB41_3
; %bb.5:                                ;   in Loop: Header=BB41_4 Depth=1
	v_add_u32_e32 v10, s19, v2
	v_mul_lo_u32 v4, v10, s17
	v_lshlrev_b64 v[8:9], 3, v[4:5]
	v_lshl_add_u64 v[6:7], s[14:15], 0, v[8:9]
	v_lshl_add_u64 v[8:9], s[12:13], 0, v[8:9]
	v_cmp_gt_u32_e32 vcc, s16, v10
	v_cmp_le_u32_e64 s[6:7], s16, v10
	s_mov_b32 s29, 0
	v_mov_b64_e32 v[12:13], s[20:21]
	s_branch .LBB41_7
.LBB41_6:                               ;   in Loop: Header=BB41_7 Depth=2
	s_or_b64 exec, exec, s[22:23]
	ds_read_b64 v[12:13], v17
	s_add_i32 s29, s29, s3
	s_cmp_ge_u32 s29, s17
	s_waitcnt lgkmcnt(0)
	s_barrier
	s_cbranch_scc1 .LBB41_3
.LBB41_7:                               ;   Parent Loop BB41_4 Depth=1
                                        ; =>  This Loop Header: Depth=2
                                        ;       Child Loop BB41_16 Depth 3
	v_add_u32_e32 v4, s29, v1
	v_add_u32_e32 v10, s26, v4
	s_and_saveexec_b64 s[22:23], vcc
	s_cbranch_execz .LBB41_14
; %bb.8:                                ;   in Loop: Header=BB41_7 Depth=2
	v_cmp_gt_u32_e64 s[10:11], s17, v4
	v_mov_b64_e32 v[14:15], s[20:21]
	s_and_saveexec_b64 s[24:25], s[10:11]
	s_cbranch_execz .LBB41_10
; %bb.9:                                ;   in Loop: Header=BB41_7 Depth=2
	v_lshl_add_u64 v[14:15], v[4:5], 3, v[6:7]
	global_load_dwordx2 v[14:15], v[14:15], off
.LBB41_10:                              ;   in Loop: Header=BB41_7 Depth=2
	s_or_b64 exec, exec, s[24:25]
	s_waitcnt vmcnt(0)
	ds_write_b64 v3, v[14:15]
	v_cmp_gt_u32_e64 s[10:11], s17, v10
	v_mov_b64_e32 v[14:15], s[20:21]
	s_and_saveexec_b64 s[24:25], s[10:11]
	s_cbranch_execz .LBB41_12
; %bb.11:                               ;   in Loop: Header=BB41_7 Depth=2
	v_mov_b32_e32 v11, v5
	v_lshl_add_u64 v[14:15], v[10:11], 3, v[6:7]
	global_load_dwordx2 v[14:15], v[14:15], off
.LBB41_12:                              ;   in Loop: Header=BB41_7 Depth=2
	s_or_b64 exec, exec, s[24:25]
	s_waitcnt vmcnt(0)
	ds_write_b64 v16, v[14:15]
	s_and_b64 exec, exec, s[8:9]
	s_cbranch_execz .LBB41_14
; %bb.13:                               ;   in Loop: Header=BB41_7 Depth=2
	ds_read_b64 v[14:15], v18
	s_waitcnt lgkmcnt(0)
	v_lshl_add_u64 v[12:13], v[14:15], 0, v[12:13]
	ds_write_b64 v18, v[12:13]
.LBB41_14:                              ;   in Loop: Header=BB41_7 Depth=2
	s_or_b64 exec, exec, s[22:23]
	v_mov_b32_e32 v11, 0
	s_mov_b64 s[22:23], 0
	s_waitcnt lgkmcnt(0)
	s_barrier
	s_branch .LBB41_16
.LBB41_15:                              ;   in Loop: Header=BB41_16 Depth=3
	s_or_b64 exec, exec, s[10:11]
	v_cmp_eq_u32_e64 s[10:11], s28, v11
	s_or_b64 s[22:23], s[10:11], s[22:23]
	s_waitcnt lgkmcnt(0)
	s_barrier
	s_andn2_b64 exec, exec, s[22:23]
	s_cbranch_execz .LBB41_20
.LBB41_16:                              ;   Parent Loop BB41_4 Depth=1
                                        ;     Parent Loop BB41_7 Depth=2
                                        ; =>    This Inner Loop Header: Depth=3
	v_add_u32_e32 v12, 1, v11
	s_and_saveexec_b64 s[10:11], s[6:7]
	s_xor_b64 s[10:11], exec, s[10:11]
; %bb.17:                               ;   in Loop: Header=BB41_16 Depth=3
	v_add_u32_e32 v11, 1, v11
                                        ; implicit-def: $vgpr12
; %bb.18:                               ;   in Loop: Header=BB41_16 Depth=3
	s_andn2_saveexec_b64 s[10:11], s[10:11]
	s_cbranch_execz .LBB41_15
; %bb.19:                               ;   in Loop: Header=BB41_16 Depth=3
	v_lshlrev_b32_e64 v13, v11, 1
	v_lshrrev_b32_e32 v14, v11, v1
	v_lshl_or_b32 v13, v14, v12, v13
	v_bfm_b32 v11, v11, 0
	v_and_b32_e32 v11, v11, v1
	v_lshl_add_u32 v13, v13, 3, v18
	v_lshl_add_u32 v11, v11, 3, v13
	v_add_u32_e32 v13, -8, v13
	ds_read_b64 v[14:15], v11
	ds_read_b64 v[20:21], v13
	s_waitcnt lgkmcnt(0)
	v_lshl_add_u64 v[14:15], v[20:21], 0, v[14:15]
	ds_write_b64 v11, v[14:15]
	v_mov_b32_e32 v11, v12
	s_branch .LBB41_15
.LBB41_20:                              ;   in Loop: Header=BB41_7 Depth=2
	s_or_b64 exec, exec, s[22:23]
	s_and_saveexec_b64 s[22:23], vcc
	s_cbranch_execz .LBB41_6
; %bb.21:                               ;   in Loop: Header=BB41_7 Depth=2
	v_cmp_gt_u32_e64 s[10:11], s17, v4
	s_and_saveexec_b64 s[24:25], s[10:11]
	s_cbranch_execz .LBB41_23
; %bb.22:                               ;   in Loop: Header=BB41_7 Depth=2
	ds_read_b64 v[12:13], v3
	v_lshl_add_u64 v[14:15], v[4:5], 3, v[8:9]
	s_waitcnt lgkmcnt(0)
	global_store_dwordx2 v[14:15], v[12:13], off
.LBB41_23:                              ;   in Loop: Header=BB41_7 Depth=2
	s_or_b64 exec, exec, s[24:25]
	v_cmp_gt_u32_e64 s[10:11], s17, v10
	s_and_b64 exec, exec, s[10:11]
	s_cbranch_execz .LBB41_6
; %bb.24:                               ;   in Loop: Header=BB41_7 Depth=2
	ds_read_b64 v[12:13], v16
	v_mov_b32_e32 v11, v5
	v_lshl_add_u64 v[10:11], v[10:11], 3, v[8:9]
	s_waitcnt lgkmcnt(0)
	global_store_dwordx2 v[10:11], v[12:13], off
	s_branch .LBB41_6
.LBB41_25:
	s_mov_b64 s[4:5], 0
.LBB41_26:
	s_andn2_b64 vcc, exec, s[4:5]
	s_cbranch_vccnz .LBB41_53
; %bb.27:
	s_load_dword s3, s[0:1], 0x3c
	s_add_u32 s0, s0, 48
	s_mov_b32 s9, 0
	s_addc_u32 s1, s1, 0
	s_mov_b32 s8, s16
	s_waitcnt lgkmcnt(0)
	s_lshr_b32 s3, s3, 16
	s_mul_hi_u32 s11, s3, s2
	s_mul_i32 s10, s3, s2
	v_mov_b64_e32 v[4:5], s[8:9]
	v_cmp_ge_u64_e32 vcc, s[10:11], v[4:5]
	s_cbranch_vccnz .LBB41_53
; %bb.28:
	s_lshl_b32 s22, 1, s18
	s_load_dword s5, s[0:1], 0x0
	s_and_b32 s4, 0xffff, s3
	s_ashr_i32 s23, s22, 31
	s_cmp_lg_u32 s17, 0
	s_mov_b32 s24, s17
	s_cselect_b64 s[2:3], -1, 0
	v_and_b32_e32 v0, 0x3ff, v0
	s_lshl_b64 s[16:17], s[22:23], 1
	v_mov_b32_e32 v3, 0
	v_lshl_add_u32 v19, v0, 3, v18
	s_lshl_b32 s6, s16, 3
	v_cndmask_b32_e64 v4, 0, 1, s[2:3]
	s_mov_b32 s25, s9
	v_mov_b32_e32 v1, v3
	v_lshl_add_u32 v20, s22, 3, v19
	v_cmp_eq_u32_e64 s[0:1], 0, v0
	v_add3_u32 v21, v18, s6, -8
	s_waitcnt lgkmcnt(0)
	s_mul_i32 s33, s5, s4
	s_add_i32 s34, s18, 1
	v_cmp_ne_u32_e64 s[2:3], 1, v4
	v_mov_b64_e32 v[4:5], s[8:9]
	s_branch .LBB41_30
.LBB41_29:                              ;   in Loop: Header=BB41_30 Depth=1
	s_add_u32 s10, s10, s33
	s_addc_u32 s11, s11, 0
	v_cmp_ge_u64_e32 vcc, s[10:11], v[4:5]
	s_cbranch_vccnz .LBB41_53
.LBB41_30:                              ; =>This Loop Header: Depth=1
                                        ;     Child Loop BB41_33 Depth 2
                                        ;       Child Loop BB41_43 Depth 3
	s_and_b64 vcc, exec, s[2:3]
	s_cbranch_vccnz .LBB41_29
; %bb.31:                               ;   in Loop: Header=BB41_30 Depth=1
	v_lshl_add_u64 v[10:11], s[10:11], 0, v[2:3]
	v_mad_u64_u32 v[6:7], s[4:5], v10, s24, 0
	v_mov_b32_e32 v8, v7
	v_mad_u64_u32 v[8:9], s[4:5], v11, s24, v[8:9]
	v_mov_b32_e32 v7, v8
	v_lshlrev_b64 v[8:9], 3, v[6:7]
	v_lshl_add_u64 v[6:7], s[14:15], 0, v[8:9]
	v_lshl_add_u64 v[8:9], s[12:13], 0, v[8:9]
	v_cmp_gt_u64_e64 s[4:5], s[8:9], v[10:11]
	v_cmp_le_u64_e64 s[6:7], s[8:9], v[10:11]
	s_mov_b64 s[18:19], 0
	v_mov_b64_e32 v[14:15], s[20:21]
	s_branch .LBB41_33
.LBB41_32:                              ;   in Loop: Header=BB41_33 Depth=2
	s_or_b64 exec, exec, s[26:27]
	ds_read_b64 v[14:15], v21
	s_add_u32 s18, s18, s16
	s_addc_u32 s19, s19, s17
	v_mov_b64_e32 v[10:11], s[24:25]
	v_cmp_ge_u64_e32 vcc, s[18:19], v[10:11]
	s_waitcnt lgkmcnt(0)
	s_barrier
	s_cbranch_vccnz .LBB41_29
.LBB41_33:                              ;   Parent Loop BB41_30 Depth=1
                                        ; =>  This Loop Header: Depth=2
                                        ;       Child Loop BB41_43 Depth 3
	v_lshl_add_u64 v[12:13], s[18:19], 0, v[0:1]
	v_lshl_add_u64 v[10:11], v[12:13], 0, s[22:23]
	s_and_saveexec_b64 s[26:27], s[4:5]
	s_cbranch_execz .LBB41_40
; %bb.34:                               ;   in Loop: Header=BB41_33 Depth=2
	v_cmp_gt_u64_e32 vcc, s[24:25], v[12:13]
	v_mov_b64_e32 v[16:17], s[20:21]
	s_and_saveexec_b64 s[28:29], vcc
	s_cbranch_execz .LBB41_36
; %bb.35:                               ;   in Loop: Header=BB41_33 Depth=2
	v_lshl_add_u64 v[16:17], v[12:13], 3, v[6:7]
	global_load_dwordx2 v[16:17], v[16:17], off
.LBB41_36:                              ;   in Loop: Header=BB41_33 Depth=2
	s_or_b64 exec, exec, s[28:29]
	s_waitcnt vmcnt(0)
	ds_write_b64 v19, v[16:17]
	v_cmp_gt_u64_e32 vcc, s[24:25], v[10:11]
	v_mov_b64_e32 v[16:17], s[20:21]
	s_and_saveexec_b64 s[28:29], vcc
	s_cbranch_execz .LBB41_38
; %bb.37:                               ;   in Loop: Header=BB41_33 Depth=2
	v_lshl_add_u64 v[16:17], v[10:11], 3, v[6:7]
	global_load_dwordx2 v[16:17], v[16:17], off
.LBB41_38:                              ;   in Loop: Header=BB41_33 Depth=2
	s_or_b64 exec, exec, s[28:29]
	s_waitcnt vmcnt(0)
	ds_write_b64 v20, v[16:17]
	s_and_b64 exec, exec, s[0:1]
	s_cbranch_execz .LBB41_40
; %bb.39:                               ;   in Loop: Header=BB41_33 Depth=2
	ds_read_b64 v[16:17], v18
	s_waitcnt lgkmcnt(0)
	v_lshl_add_u64 v[14:15], v[16:17], 0, v[14:15]
	ds_write_b64 v18, v[14:15]
.LBB41_40:                              ;   in Loop: Header=BB41_33 Depth=2
	s_or_b64 exec, exec, s[26:27]
	v_mov_b32_e32 v23, 0
	s_mov_b64 s[26:27], 0
	s_waitcnt lgkmcnt(0)
	s_barrier
	s_branch .LBB41_43
.LBB41_41:                              ;   in Loop: Header=BB41_43 Depth=3
	s_or_b64 exec, exec, s[30:31]
	v_lshrrev_b32_e32 v15, v23, v0
	v_lshl_or_b32 v14, v15, v22, v14
	v_lshl_add_u32 v14, v14, 3, v18
	v_lshl_add_u32 v23, v16, 3, v14
	v_add_u32_e32 v16, -8, v14
	ds_read_b64 v[14:15], v23
	ds_read_b64 v[16:17], v16
	s_waitcnt lgkmcnt(0)
	v_lshl_add_u64 v[14:15], v[16:17], 0, v[14:15]
	ds_write_b64 v23, v[14:15]
.LBB41_42:                              ;   in Loop: Header=BB41_43 Depth=3
	s_or_b64 exec, exec, s[28:29]
	v_cmp_eq_u32_e32 vcc, s34, v22
	s_or_b64 s[26:27], vcc, s[26:27]
	v_mov_b32_e32 v23, v22
	s_waitcnt lgkmcnt(0)
	s_barrier
	s_andn2_b64 exec, exec, s[26:27]
	s_cbranch_execz .LBB41_48
.LBB41_43:                              ;   Parent Loop BB41_30 Depth=1
                                        ;     Parent Loop BB41_33 Depth=2
                                        ; =>    This Inner Loop Header: Depth=3
	v_add_u32_e32 v22, 1, v23
	s_and_saveexec_b64 s[28:29], s[6:7]
	s_xor_b64 s[28:29], exec, s[28:29]
; %bb.44:                               ;   in Loop: Header=BB41_43 Depth=3
	v_add_u32_e32 v22, 1, v23
                                        ; implicit-def: $vgpr23
; %bb.45:                               ;   in Loop: Header=BB41_43 Depth=3
	s_andn2_saveexec_b64 s[28:29], s[28:29]
	s_cbranch_execz .LBB41_42
; %bb.46:                               ;   in Loop: Header=BB41_43 Depth=3
	v_lshlrev_b32_e64 v14, v23, 1
	v_ashrrev_i32_e32 v15, 31, v14
	v_cmp_ge_u64_e32 vcc, v[0:1], v[14:15]
	v_mov_b64_e32 v[16:17], v[0:1]
	s_and_saveexec_b64 s[30:31], vcc
	s_cbranch_execz .LBB41_41
; %bb.47:                               ;   in Loop: Header=BB41_43 Depth=3
	v_cvt_f32_u32_e32 v15, v14
	v_sub_u32_e32 v16, 0, v14
	v_rcp_iflag_f32_e32 v15, v15
	s_nop 0
	v_mul_f32_e32 v15, 0x4f7ffffe, v15
	v_cvt_u32_f32_e32 v15, v15
	v_mul_lo_u32 v16, v16, v15
	v_mul_hi_u32 v16, v15, v16
	v_add_u32_e32 v15, v15, v16
	v_mul_hi_u32 v15, v0, v15
	v_mul_lo_u32 v15, v15, v14
	v_sub_u32_e32 v15, v0, v15
	v_sub_u32_e32 v16, v15, v14
	v_cmp_ge_u32_e32 vcc, v15, v14
	s_nop 1
	v_cndmask_b32_e32 v15, v15, v16, vcc
	v_sub_u32_e32 v16, v15, v14
	v_cmp_ge_u32_e32 vcc, v15, v14
	s_nop 1
	v_cndmask_b32_e32 v16, v15, v16, vcc
	s_branch .LBB41_41
.LBB41_48:                              ;   in Loop: Header=BB41_33 Depth=2
	s_or_b64 exec, exec, s[26:27]
	s_and_saveexec_b64 s[26:27], s[4:5]
	s_cbranch_execz .LBB41_32
; %bb.49:                               ;   in Loop: Header=BB41_33 Depth=2
	v_cmp_gt_u64_e32 vcc, s[24:25], v[12:13]
	s_and_saveexec_b64 s[28:29], vcc
	s_cbranch_execz .LBB41_51
; %bb.50:                               ;   in Loop: Header=BB41_33 Depth=2
	ds_read_b64 v[14:15], v19
	v_lshl_add_u64 v[12:13], v[12:13], 3, v[8:9]
	s_waitcnt lgkmcnt(0)
	global_store_dwordx2 v[12:13], v[14:15], off
.LBB41_51:                              ;   in Loop: Header=BB41_33 Depth=2
	s_or_b64 exec, exec, s[28:29]
	v_cmp_gt_u64_e32 vcc, s[24:25], v[10:11]
	s_and_b64 exec, exec, vcc
	s_cbranch_execz .LBB41_32
; %bb.52:                               ;   in Loop: Header=BB41_33 Depth=2
	ds_read_b64 v[12:13], v20
	v_lshl_add_u64 v[10:11], v[10:11], 3, v[8:9]
	s_waitcnt lgkmcnt(0)
	global_store_dwordx2 v[10:11], v[12:13], off
	s_branch .LBB41_32
.LBB41_53:
	s_endpgm
	.section	.rodata,"a",@progbits
	.p2align	6, 0x0
	.amdhsa_kernel _ZN2at6native32tensor_kernel_scan_innermost_dimIlSt4plusIlEEEvPT_PKS4_jjjS4_T0_
		.amdhsa_group_segment_fixed_size 0
		.amdhsa_private_segment_fixed_size 0
		.amdhsa_kernarg_size 304
		.amdhsa_user_sgpr_count 2
		.amdhsa_user_sgpr_dispatch_ptr 0
		.amdhsa_user_sgpr_queue_ptr 0
		.amdhsa_user_sgpr_kernarg_segment_ptr 1
		.amdhsa_user_sgpr_dispatch_id 0
		.amdhsa_user_sgpr_kernarg_preload_length 0
		.amdhsa_user_sgpr_kernarg_preload_offset 0
		.amdhsa_user_sgpr_private_segment_size 0
		.amdhsa_uses_dynamic_stack 0
		.amdhsa_enable_private_segment 0
		.amdhsa_system_sgpr_workgroup_id_x 1
		.amdhsa_system_sgpr_workgroup_id_y 0
		.amdhsa_system_sgpr_workgroup_id_z 0
		.amdhsa_system_sgpr_workgroup_info 0
		.amdhsa_system_vgpr_workitem_id 1
		.amdhsa_next_free_vgpr 24
		.amdhsa_next_free_sgpr 35
		.amdhsa_accum_offset 24
		.amdhsa_reserve_vcc 1
		.amdhsa_float_round_mode_32 0
		.amdhsa_float_round_mode_16_64 0
		.amdhsa_float_denorm_mode_32 3
		.amdhsa_float_denorm_mode_16_64 3
		.amdhsa_dx10_clamp 1
		.amdhsa_ieee_mode 1
		.amdhsa_fp16_overflow 0
		.amdhsa_tg_split 0
		.amdhsa_exception_fp_ieee_invalid_op 0
		.amdhsa_exception_fp_denorm_src 0
		.amdhsa_exception_fp_ieee_div_zero 0
		.amdhsa_exception_fp_ieee_overflow 0
		.amdhsa_exception_fp_ieee_underflow 0
		.amdhsa_exception_fp_ieee_inexact 0
		.amdhsa_exception_int_div_zero 0
	.end_amdhsa_kernel
	.section	.text._ZN2at6native32tensor_kernel_scan_innermost_dimIlSt4plusIlEEEvPT_PKS4_jjjS4_T0_,"axG",@progbits,_ZN2at6native32tensor_kernel_scan_innermost_dimIlSt4plusIlEEEvPT_PKS4_jjjS4_T0_,comdat
.Lfunc_end41:
	.size	_ZN2at6native32tensor_kernel_scan_innermost_dimIlSt4plusIlEEEvPT_PKS4_jjjS4_T0_, .Lfunc_end41-_ZN2at6native32tensor_kernel_scan_innermost_dimIlSt4plusIlEEEvPT_PKS4_jjjS4_T0_
                                        ; -- End function
	.set _ZN2at6native32tensor_kernel_scan_innermost_dimIlSt4plusIlEEEvPT_PKS4_jjjS4_T0_.num_vgpr, 24
	.set _ZN2at6native32tensor_kernel_scan_innermost_dimIlSt4plusIlEEEvPT_PKS4_jjjS4_T0_.num_agpr, 0
	.set _ZN2at6native32tensor_kernel_scan_innermost_dimIlSt4plusIlEEEvPT_PKS4_jjjS4_T0_.numbered_sgpr, 35
	.set _ZN2at6native32tensor_kernel_scan_innermost_dimIlSt4plusIlEEEvPT_PKS4_jjjS4_T0_.num_named_barrier, 0
	.set _ZN2at6native32tensor_kernel_scan_innermost_dimIlSt4plusIlEEEvPT_PKS4_jjjS4_T0_.private_seg_size, 0
	.set _ZN2at6native32tensor_kernel_scan_innermost_dimIlSt4plusIlEEEvPT_PKS4_jjjS4_T0_.uses_vcc, 1
	.set _ZN2at6native32tensor_kernel_scan_innermost_dimIlSt4plusIlEEEvPT_PKS4_jjjS4_T0_.uses_flat_scratch, 0
	.set _ZN2at6native32tensor_kernel_scan_innermost_dimIlSt4plusIlEEEvPT_PKS4_jjjS4_T0_.has_dyn_sized_stack, 0
	.set _ZN2at6native32tensor_kernel_scan_innermost_dimIlSt4plusIlEEEvPT_PKS4_jjjS4_T0_.has_recursion, 0
	.set _ZN2at6native32tensor_kernel_scan_innermost_dimIlSt4plusIlEEEvPT_PKS4_jjjS4_T0_.has_indirect_call, 0
	.section	.AMDGPU.csdata,"",@progbits
; Kernel info:
; codeLenInByte = 1648
; TotalNumSgprs: 41
; NumVgprs: 24
; NumAgprs: 0
; TotalNumVgprs: 24
; ScratchSize: 0
; MemoryBound: 0
; FloatMode: 240
; IeeeMode: 1
; LDSByteSize: 0 bytes/workgroup (compile time only)
; SGPRBlocks: 5
; VGPRBlocks: 2
; NumSGPRsForWavesPerEU: 41
; NumVGPRsForWavesPerEU: 24
; AccumOffset: 24
; Occupancy: 8
; WaveLimiterHint : 0
; COMPUTE_PGM_RSRC2:SCRATCH_EN: 0
; COMPUTE_PGM_RSRC2:USER_SGPR: 2
; COMPUTE_PGM_RSRC2:TRAP_HANDLER: 0
; COMPUTE_PGM_RSRC2:TGID_X_EN: 1
; COMPUTE_PGM_RSRC2:TGID_Y_EN: 0
; COMPUTE_PGM_RSRC2:TGID_Z_EN: 0
; COMPUTE_PGM_RSRC2:TIDIG_COMP_CNT: 1
; COMPUTE_PGM_RSRC3_GFX90A:ACCUM_OFFSET: 5
; COMPUTE_PGM_RSRC3_GFX90A:TG_SPLIT: 0
	.section	.text._ZN2at6native28tensor_kernel_scan_outer_dimIljSt4plusIlEEEvPT_PKS4_jjjS4_T1_,"axG",@progbits,_ZN2at6native28tensor_kernel_scan_outer_dimIljSt4plusIlEEEvPT_PKS4_jjjS4_T1_,comdat
	.protected	_ZN2at6native28tensor_kernel_scan_outer_dimIljSt4plusIlEEEvPT_PKS4_jjjS4_T1_ ; -- Begin function _ZN2at6native28tensor_kernel_scan_outer_dimIljSt4plusIlEEEvPT_PKS4_jjjS4_T1_
	.globl	_ZN2at6native28tensor_kernel_scan_outer_dimIljSt4plusIlEEEvPT_PKS4_jjjS4_T1_
	.p2align	8
	.type	_ZN2at6native28tensor_kernel_scan_outer_dimIljSt4plusIlEEEvPT_PKS4_jjjS4_T1_,@function
_ZN2at6native28tensor_kernel_scan_outer_dimIljSt4plusIlEEEvPT_PKS4_jjjS4_T1_: ; @_ZN2at6native28tensor_kernel_scan_outer_dimIljSt4plusIlEEEvPT_PKS4_jjjS4_T1_
; %bb.0:
	s_load_dwordx4 s[8:11], s[0:1], 0x10
	s_waitcnt lgkmcnt(0)
	s_cmp_ge_u32 s2, s8
	s_cbranch_scc1 .LBB42_9
; %bb.1:
	s_load_dword s11, s[0:1], 0x30
	s_load_dword s4, s[0:1], 0x3c
	s_load_dwordx4 s[12:15], s[0:1], 0x0
	s_load_dwordx2 s[6:7], s[0:1], 0x20
	s_add_u32 s16, s0, 48
	s_addc_u32 s17, s1, 0
	s_waitcnt lgkmcnt(0)
	s_and_b32 s28, s4, 0xffff
	s_mul_i32 s3, s3, s28
	s_cmp_lg_u32 s10, 0
	v_add_u32_e32 v6, s3, v0
	s_cselect_b64 s[4:5], -1, 0
	s_mul_i32 s3, s2, s10
	s_mov_b32 s19, 0
	s_mov_b32 s18, s9
	s_mul_i32 s22, s3, s9
	s_mul_i32 s3, s11, s10
	v_cndmask_b32_e64 v0, 0, 1, s[4:5]
	v_cmp_gt_u32_e64 s[0:1], s9, v6
	s_mul_i32 s3, s3, s9
	s_lshl_b64 s[20:21], s[18:19], 3
	v_cmp_ne_u32_e64 s[4:5], 1, v0
	v_mov_b32_e32 v1, 0
	s_mov_b32 s18, s22
	s_branch .LBB42_3
.LBB42_2:                               ;   in Loop: Header=BB42_3 Depth=1
	s_or_b64 exec, exec, s[22:23]
	s_add_i32 s2, s11, s2
	s_add_i32 s18, s18, s3
	s_cmp_ge_u32 s2, s8
	s_cbranch_scc1 .LBB42_9
.LBB42_3:                               ; =>This Loop Header: Depth=1
                                        ;     Child Loop BB42_6 Depth 2
                                        ;       Child Loop BB42_8 Depth 3
	s_and_saveexec_b64 s[22:23], s[0:1]
	s_cbranch_execz .LBB42_2
; %bb.4:                                ;   in Loop: Header=BB42_3 Depth=1
	s_load_dword s29, s[16:17], 0x4
	s_lshl_b64 s[24:25], s[18:19], 3
	s_mov_b64 s[26:27], 0
	v_mov_b32_e32 v0, v6
	s_waitcnt lgkmcnt(0)
	s_mul_i32 s29, s29, s28
	s_branch .LBB42_6
.LBB42_5:                               ;   in Loop: Header=BB42_6 Depth=2
	v_add_u32_e32 v0, s29, v0
	v_cmp_le_u32_e32 vcc, s9, v0
	s_or_b64 s[26:27], vcc, s[26:27]
	s_andn2_b64 exec, exec, s[26:27]
	s_cbranch_execz .LBB42_2
.LBB42_6:                               ;   Parent Loop BB42_3 Depth=1
                                        ; =>  This Loop Header: Depth=2
                                        ;       Child Loop BB42_8 Depth 3
	s_and_b64 vcc, exec, s[4:5]
	s_cbranch_vccnz .LBB42_5
; %bb.7:                                ;   in Loop: Header=BB42_6 Depth=2
	v_lshl_add_u64 v[2:3], v[0:1], 3, s[24:25]
	v_mov_b64_e32 v[4:5], s[6:7]
	s_mov_b32 s30, s10
.LBB42_8:                               ;   Parent Loop BB42_3 Depth=1
                                        ;     Parent Loop BB42_6 Depth=2
                                        ; =>    This Inner Loop Header: Depth=3
	v_lshl_add_u64 v[8:9], s[14:15], 0, v[2:3]
	global_load_dwordx2 v[8:9], v[8:9], off
	s_add_i32 s30, s30, -1
	v_lshl_add_u64 v[10:11], s[12:13], 0, v[2:3]
	v_lshl_add_u64 v[2:3], v[2:3], 0, s[20:21]
	s_cmp_eq_u32 s30, 0
	s_waitcnt vmcnt(0)
	v_lshl_add_u64 v[4:5], v[8:9], 0, v[4:5]
	global_store_dwordx2 v[10:11], v[4:5], off
	s_cbranch_scc0 .LBB42_8
	s_branch .LBB42_5
.LBB42_9:
	s_endpgm
	.section	.rodata,"a",@progbits
	.p2align	6, 0x0
	.amdhsa_kernel _ZN2at6native28tensor_kernel_scan_outer_dimIljSt4plusIlEEEvPT_PKS4_jjjS4_T1_
		.amdhsa_group_segment_fixed_size 0
		.amdhsa_private_segment_fixed_size 0
		.amdhsa_kernarg_size 304
		.amdhsa_user_sgpr_count 2
		.amdhsa_user_sgpr_dispatch_ptr 0
		.amdhsa_user_sgpr_queue_ptr 0
		.amdhsa_user_sgpr_kernarg_segment_ptr 1
		.amdhsa_user_sgpr_dispatch_id 0
		.amdhsa_user_sgpr_kernarg_preload_length 0
		.amdhsa_user_sgpr_kernarg_preload_offset 0
		.amdhsa_user_sgpr_private_segment_size 0
		.amdhsa_uses_dynamic_stack 0
		.amdhsa_enable_private_segment 0
		.amdhsa_system_sgpr_workgroup_id_x 1
		.amdhsa_system_sgpr_workgroup_id_y 1
		.amdhsa_system_sgpr_workgroup_id_z 0
		.amdhsa_system_sgpr_workgroup_info 0
		.amdhsa_system_vgpr_workitem_id 0
		.amdhsa_next_free_vgpr 12
		.amdhsa_next_free_sgpr 31
		.amdhsa_accum_offset 12
		.amdhsa_reserve_vcc 1
		.amdhsa_float_round_mode_32 0
		.amdhsa_float_round_mode_16_64 0
		.amdhsa_float_denorm_mode_32 3
		.amdhsa_float_denorm_mode_16_64 3
		.amdhsa_dx10_clamp 1
		.amdhsa_ieee_mode 1
		.amdhsa_fp16_overflow 0
		.amdhsa_tg_split 0
		.amdhsa_exception_fp_ieee_invalid_op 0
		.amdhsa_exception_fp_denorm_src 0
		.amdhsa_exception_fp_ieee_div_zero 0
		.amdhsa_exception_fp_ieee_overflow 0
		.amdhsa_exception_fp_ieee_underflow 0
		.amdhsa_exception_fp_ieee_inexact 0
		.amdhsa_exception_int_div_zero 0
	.end_amdhsa_kernel
	.section	.text._ZN2at6native28tensor_kernel_scan_outer_dimIljSt4plusIlEEEvPT_PKS4_jjjS4_T1_,"axG",@progbits,_ZN2at6native28tensor_kernel_scan_outer_dimIljSt4plusIlEEEvPT_PKS4_jjjS4_T1_,comdat
.Lfunc_end42:
	.size	_ZN2at6native28tensor_kernel_scan_outer_dimIljSt4plusIlEEEvPT_PKS4_jjjS4_T1_, .Lfunc_end42-_ZN2at6native28tensor_kernel_scan_outer_dimIljSt4plusIlEEEvPT_PKS4_jjjS4_T1_
                                        ; -- End function
	.set _ZN2at6native28tensor_kernel_scan_outer_dimIljSt4plusIlEEEvPT_PKS4_jjjS4_T1_.num_vgpr, 12
	.set _ZN2at6native28tensor_kernel_scan_outer_dimIljSt4plusIlEEEvPT_PKS4_jjjS4_T1_.num_agpr, 0
	.set _ZN2at6native28tensor_kernel_scan_outer_dimIljSt4plusIlEEEvPT_PKS4_jjjS4_T1_.numbered_sgpr, 31
	.set _ZN2at6native28tensor_kernel_scan_outer_dimIljSt4plusIlEEEvPT_PKS4_jjjS4_T1_.num_named_barrier, 0
	.set _ZN2at6native28tensor_kernel_scan_outer_dimIljSt4plusIlEEEvPT_PKS4_jjjS4_T1_.private_seg_size, 0
	.set _ZN2at6native28tensor_kernel_scan_outer_dimIljSt4plusIlEEEvPT_PKS4_jjjS4_T1_.uses_vcc, 1
	.set _ZN2at6native28tensor_kernel_scan_outer_dimIljSt4plusIlEEEvPT_PKS4_jjjS4_T1_.uses_flat_scratch, 0
	.set _ZN2at6native28tensor_kernel_scan_outer_dimIljSt4plusIlEEEvPT_PKS4_jjjS4_T1_.has_dyn_sized_stack, 0
	.set _ZN2at6native28tensor_kernel_scan_outer_dimIljSt4plusIlEEEvPT_PKS4_jjjS4_T1_.has_recursion, 0
	.set _ZN2at6native28tensor_kernel_scan_outer_dimIljSt4plusIlEEEvPT_PKS4_jjjS4_T1_.has_indirect_call, 0
	.section	.AMDGPU.csdata,"",@progbits
; Kernel info:
; codeLenInByte = 328
; TotalNumSgprs: 37
; NumVgprs: 12
; NumAgprs: 0
; TotalNumVgprs: 12
; ScratchSize: 0
; MemoryBound: 0
; FloatMode: 240
; IeeeMode: 1
; LDSByteSize: 0 bytes/workgroup (compile time only)
; SGPRBlocks: 4
; VGPRBlocks: 1
; NumSGPRsForWavesPerEU: 37
; NumVGPRsForWavesPerEU: 12
; AccumOffset: 12
; Occupancy: 8
; WaveLimiterHint : 0
; COMPUTE_PGM_RSRC2:SCRATCH_EN: 0
; COMPUTE_PGM_RSRC2:USER_SGPR: 2
; COMPUTE_PGM_RSRC2:TRAP_HANDLER: 0
; COMPUTE_PGM_RSRC2:TGID_X_EN: 1
; COMPUTE_PGM_RSRC2:TGID_Y_EN: 1
; COMPUTE_PGM_RSRC2:TGID_Z_EN: 0
; COMPUTE_PGM_RSRC2:TIDIG_COMP_CNT: 0
; COMPUTE_PGM_RSRC3_GFX90A:ACCUM_OFFSET: 2
; COMPUTE_PGM_RSRC3_GFX90A:TG_SPLIT: 0
	.section	.text._ZN2at6native28tensor_kernel_scan_outer_dimIlmSt4plusIlEEEvPT_PKS4_jjjS4_T1_,"axG",@progbits,_ZN2at6native28tensor_kernel_scan_outer_dimIlmSt4plusIlEEEvPT_PKS4_jjjS4_T1_,comdat
	.protected	_ZN2at6native28tensor_kernel_scan_outer_dimIlmSt4plusIlEEEvPT_PKS4_jjjS4_T1_ ; -- Begin function _ZN2at6native28tensor_kernel_scan_outer_dimIlmSt4plusIlEEEvPT_PKS4_jjjS4_T1_
	.globl	_ZN2at6native28tensor_kernel_scan_outer_dimIlmSt4plusIlEEEvPT_PKS4_jjjS4_T1_
	.p2align	8
	.type	_ZN2at6native28tensor_kernel_scan_outer_dimIlmSt4plusIlEEEvPT_PKS4_jjjS4_T1_,@function
_ZN2at6native28tensor_kernel_scan_outer_dimIlmSt4plusIlEEEvPT_PKS4_jjjS4_T1_: ; @_ZN2at6native28tensor_kernel_scan_outer_dimIlmSt4plusIlEEEvPT_PKS4_jjjS4_T1_
; %bb.0:
	s_load_dwordx4 s[8:11], s[0:1], 0x10
	s_waitcnt lgkmcnt(0)
	s_cmp_ge_u32 s2, s8
	s_cbranch_scc1 .LBB43_9
; %bb.1:
	s_load_dword s11, s[0:1], 0x30
	s_load_dword s4, s[0:1], 0x3c
	s_load_dwordx4 s[12:15], s[0:1], 0x0
	s_load_dwordx2 s[6:7], s[0:1], 0x20
	s_add_u32 s16, s0, 48
	s_addc_u32 s17, s1, 0
	s_waitcnt lgkmcnt(0)
	s_and_b32 s28, s4, 0xffff
	s_cmp_lg_u32 s10, 0
	s_mul_i32 s3, s3, s28
	s_cselect_b64 s[22:23], -1, 0
	v_add_u32_e32 v6, s3, v0
	s_mov_b32 s5, 0
	s_mov_b32 s4, s9
	s_mul_hi_u32 s19, s10, s9
	s_mul_i32 s18, s10, s9
	v_cndmask_b32_e64 v0, 0, 1, s[22:23]
	v_cmp_gt_u32_e64 s[0:1], s9, v6
	s_lshl_b64 s[18:19], s[18:19], 3
	s_lshl_b64 s[20:21], s[4:5], 3
	v_cmp_ne_u32_e64 s[4:5], 1, v0
	v_mov_b32_e32 v1, 0
	s_branch .LBB43_3
.LBB43_2:                               ;   in Loop: Header=BB43_3 Depth=1
	s_or_b64 exec, exec, s[22:23]
	s_add_i32 s2, s2, s11
	s_cmp_ge_u32 s2, s8
	s_cbranch_scc1 .LBB43_9
.LBB43_3:                               ; =>This Loop Header: Depth=1
                                        ;     Child Loop BB43_6 Depth 2
                                        ;       Child Loop BB43_8 Depth 3
	s_and_saveexec_b64 s[22:23], s[0:1]
	s_cbranch_execz .LBB43_2
; %bb.4:                                ;   in Loop: Header=BB43_3 Depth=1
	s_load_dword s3, s[16:17], 0x4
	s_mul_i32 s25, s19, s2
	s_mul_hi_u32 s26, s18, s2
	s_mul_i32 s24, s18, s2
	s_add_i32 s25, s26, s25
	s_waitcnt lgkmcnt(0)
	s_mul_i32 s3, s3, s28
	s_mov_b64 s[26:27], 0
	v_mov_b32_e32 v0, v6
	s_branch .LBB43_6
.LBB43_5:                               ;   in Loop: Header=BB43_6 Depth=2
	v_add_u32_e32 v0, s3, v0
	v_cmp_le_u32_e32 vcc, s9, v0
	s_or_b64 s[26:27], vcc, s[26:27]
	s_andn2_b64 exec, exec, s[26:27]
	s_cbranch_execz .LBB43_2
.LBB43_6:                               ;   Parent Loop BB43_3 Depth=1
                                        ; =>  This Loop Header: Depth=2
                                        ;       Child Loop BB43_8 Depth 3
	s_and_b64 vcc, exec, s[4:5]
	s_cbranch_vccnz .LBB43_5
; %bb.7:                                ;   in Loop: Header=BB43_6 Depth=2
	v_lshl_add_u64 v[2:3], v[0:1], 3, s[24:25]
	v_mov_b64_e32 v[4:5], s[6:7]
	s_mov_b32 s29, s10
.LBB43_8:                               ;   Parent Loop BB43_3 Depth=1
                                        ;     Parent Loop BB43_6 Depth=2
                                        ; =>    This Inner Loop Header: Depth=3
	v_lshl_add_u64 v[8:9], s[14:15], 0, v[2:3]
	global_load_dwordx2 v[8:9], v[8:9], off
	s_add_i32 s29, s29, -1
	v_lshl_add_u64 v[10:11], s[12:13], 0, v[2:3]
	v_lshl_add_u64 v[2:3], v[2:3], 0, s[20:21]
	s_cmp_eq_u32 s29, 0
	s_waitcnt vmcnt(0)
	v_lshl_add_u64 v[4:5], v[8:9], 0, v[4:5]
	global_store_dwordx2 v[10:11], v[4:5], off
	s_cbranch_scc0 .LBB43_8
	s_branch .LBB43_5
.LBB43_9:
	s_endpgm
	.section	.rodata,"a",@progbits
	.p2align	6, 0x0
	.amdhsa_kernel _ZN2at6native28tensor_kernel_scan_outer_dimIlmSt4plusIlEEEvPT_PKS4_jjjS4_T1_
		.amdhsa_group_segment_fixed_size 0
		.amdhsa_private_segment_fixed_size 0
		.amdhsa_kernarg_size 304
		.amdhsa_user_sgpr_count 2
		.amdhsa_user_sgpr_dispatch_ptr 0
		.amdhsa_user_sgpr_queue_ptr 0
		.amdhsa_user_sgpr_kernarg_segment_ptr 1
		.amdhsa_user_sgpr_dispatch_id 0
		.amdhsa_user_sgpr_kernarg_preload_length 0
		.amdhsa_user_sgpr_kernarg_preload_offset 0
		.amdhsa_user_sgpr_private_segment_size 0
		.amdhsa_uses_dynamic_stack 0
		.amdhsa_enable_private_segment 0
		.amdhsa_system_sgpr_workgroup_id_x 1
		.amdhsa_system_sgpr_workgroup_id_y 1
		.amdhsa_system_sgpr_workgroup_id_z 0
		.amdhsa_system_sgpr_workgroup_info 0
		.amdhsa_system_vgpr_workitem_id 0
		.amdhsa_next_free_vgpr 12
		.amdhsa_next_free_sgpr 30
		.amdhsa_accum_offset 12
		.amdhsa_reserve_vcc 1
		.amdhsa_float_round_mode_32 0
		.amdhsa_float_round_mode_16_64 0
		.amdhsa_float_denorm_mode_32 3
		.amdhsa_float_denorm_mode_16_64 3
		.amdhsa_dx10_clamp 1
		.amdhsa_ieee_mode 1
		.amdhsa_fp16_overflow 0
		.amdhsa_tg_split 0
		.amdhsa_exception_fp_ieee_invalid_op 0
		.amdhsa_exception_fp_denorm_src 0
		.amdhsa_exception_fp_ieee_div_zero 0
		.amdhsa_exception_fp_ieee_overflow 0
		.amdhsa_exception_fp_ieee_underflow 0
		.amdhsa_exception_fp_ieee_inexact 0
		.amdhsa_exception_int_div_zero 0
	.end_amdhsa_kernel
	.section	.text._ZN2at6native28tensor_kernel_scan_outer_dimIlmSt4plusIlEEEvPT_PKS4_jjjS4_T1_,"axG",@progbits,_ZN2at6native28tensor_kernel_scan_outer_dimIlmSt4plusIlEEEvPT_PKS4_jjjS4_T1_,comdat
.Lfunc_end43:
	.size	_ZN2at6native28tensor_kernel_scan_outer_dimIlmSt4plusIlEEEvPT_PKS4_jjjS4_T1_, .Lfunc_end43-_ZN2at6native28tensor_kernel_scan_outer_dimIlmSt4plusIlEEEvPT_PKS4_jjjS4_T1_
                                        ; -- End function
	.set _ZN2at6native28tensor_kernel_scan_outer_dimIlmSt4plusIlEEEvPT_PKS4_jjjS4_T1_.num_vgpr, 12
	.set _ZN2at6native28tensor_kernel_scan_outer_dimIlmSt4plusIlEEEvPT_PKS4_jjjS4_T1_.num_agpr, 0
	.set _ZN2at6native28tensor_kernel_scan_outer_dimIlmSt4plusIlEEEvPT_PKS4_jjjS4_T1_.numbered_sgpr, 30
	.set _ZN2at6native28tensor_kernel_scan_outer_dimIlmSt4plusIlEEEvPT_PKS4_jjjS4_T1_.num_named_barrier, 0
	.set _ZN2at6native28tensor_kernel_scan_outer_dimIlmSt4plusIlEEEvPT_PKS4_jjjS4_T1_.private_seg_size, 0
	.set _ZN2at6native28tensor_kernel_scan_outer_dimIlmSt4plusIlEEEvPT_PKS4_jjjS4_T1_.uses_vcc, 1
	.set _ZN2at6native28tensor_kernel_scan_outer_dimIlmSt4plusIlEEEvPT_PKS4_jjjS4_T1_.uses_flat_scratch, 0
	.set _ZN2at6native28tensor_kernel_scan_outer_dimIlmSt4plusIlEEEvPT_PKS4_jjjS4_T1_.has_dyn_sized_stack, 0
	.set _ZN2at6native28tensor_kernel_scan_outer_dimIlmSt4plusIlEEEvPT_PKS4_jjjS4_T1_.has_recursion, 0
	.set _ZN2at6native28tensor_kernel_scan_outer_dimIlmSt4plusIlEEEvPT_PKS4_jjjS4_T1_.has_indirect_call, 0
	.section	.AMDGPU.csdata,"",@progbits
; Kernel info:
; codeLenInByte = 328
; TotalNumSgprs: 36
; NumVgprs: 12
; NumAgprs: 0
; TotalNumVgprs: 12
; ScratchSize: 0
; MemoryBound: 0
; FloatMode: 240
; IeeeMode: 1
; LDSByteSize: 0 bytes/workgroup (compile time only)
; SGPRBlocks: 4
; VGPRBlocks: 1
; NumSGPRsForWavesPerEU: 36
; NumVGPRsForWavesPerEU: 12
; AccumOffset: 12
; Occupancy: 8
; WaveLimiterHint : 0
; COMPUTE_PGM_RSRC2:SCRATCH_EN: 0
; COMPUTE_PGM_RSRC2:USER_SGPR: 2
; COMPUTE_PGM_RSRC2:TRAP_HANDLER: 0
; COMPUTE_PGM_RSRC2:TGID_X_EN: 1
; COMPUTE_PGM_RSRC2:TGID_Y_EN: 1
; COMPUTE_PGM_RSRC2:TGID_Z_EN: 0
; COMPUTE_PGM_RSRC2:TIDIG_COMP_CNT: 0
; COMPUTE_PGM_RSRC3_GFX90A:ACCUM_OFFSET: 2
; COMPUTE_PGM_RSRC3_GFX90A:TG_SPLIT: 0
	.section	.text._ZN2at4cuda3cub15calc_block_sumsILi512ELi16ELb0EssEEvPKT2_PT3_li,"axG",@progbits,_ZN2at4cuda3cub15calc_block_sumsILi512ELi16ELb0EssEEvPKT2_PT3_li,comdat
	.protected	_ZN2at4cuda3cub15calc_block_sumsILi512ELi16ELb0EssEEvPKT2_PT3_li ; -- Begin function _ZN2at4cuda3cub15calc_block_sumsILi512ELi16ELb0EssEEvPKT2_PT3_li
	.globl	_ZN2at4cuda3cub15calc_block_sumsILi512ELi16ELb0EssEEvPKT2_PT3_li
	.p2align	8
	.type	_ZN2at4cuda3cub15calc_block_sumsILi512ELi16ELb0EssEEvPKT2_PT3_li,@function
_ZN2at4cuda3cub15calc_block_sumsILi512ELi16ELb0EssEEvPKT2_PT3_li: ; @_ZN2at4cuda3cub15calc_block_sumsILi512ELi16ELb0EssEEvPKT2_PT3_li
; %bb.0:
	s_load_dword s16, s[0:1], 0x18
	s_load_dwordx2 s[10:11], s[0:1], 0x10
	s_waitcnt lgkmcnt(0)
	s_lshl_b32 s3, s16, 13
	s_ashr_i32 s4, s3, 31
	s_mul_hi_u32 s5, s3, s2
	s_mul_i32 s4, s4, s2
	s_add_i32 s15, s5, s4
	s_mul_i32 s14, s3, s2
	s_sub_u32 s8, s10, s14
	s_subb_u32 s9, s11, s15
	v_cmp_lt_i64_e64 s[4:5], s[8:9], 1
	s_and_b64 vcc, exec, s[4:5]
	s_cbranch_vccnz .LBB44_54
; %bb.1:
	s_load_dwordx4 s[4:7], s[0:1], 0x0
	s_mov_b32 s3, 0
	s_mov_b64 s[12:13], -1
	s_cmp_gt_i32 s16, 0
	s_mov_b64 s[0:1], -1
	s_cbranch_scc1 .LBB44_3
; %bb.2:
	s_mov_b64 s[0:1], 0
.LBB44_3:
	s_andn2_b64 vcc, exec, s[0:1]
	v_mov_b32_e32 v29, 0
	s_cbranch_vccnz .LBB44_52
; %bb.4:
	s_mul_i32 s11, s2, s16
	s_lshl_b32 s11, s11, 13
	v_lshrrev_b32_e32 v2, 5, v0
	s_sub_i32 s17, s10, s11
	s_lshl_b64 s[10:11], s[14:15], 1
	v_and_b32_e32 v33, 30, v2
	v_mov_b32_e32 v2, 0
	s_waitcnt lgkmcnt(0)
	s_add_u32 s4, s4, s10
	v_lshlrev_b32_e32 v4, 1, v0
	v_mov_b32_e32 v5, v2
	s_addc_u32 s5, s5, s11
	v_mbcnt_lo_u32_b32 v3, -1, 0
	v_add_u32_e32 v1, 0x200, v0
	v_or_b32_e32 v18, 0x400, v0
	v_add_u32_e32 v19, 0x600, v0
	v_or_b32_e32 v20, 0x800, v0
	;; [unrolled: 2-line block ×7, first 2 shown]
	v_add_u32_e32 v32, 0x1e00, v0
	v_cmp_gt_u32_e64 s[0:1], 64, v0
	v_lshl_add_u64 v[16:17], s[4:5], 0, v[4:5]
	v_mov_b64_e32 v[12:13], 0x2000
	s_mov_b32 s14, 0x5040100
	s_mov_b32 s15, 0xffff
	s_mov_b64 s[4:5], 0x4000
	v_mbcnt_hi_u32_b32 v34, -1, v3
	v_mov_b64_e32 v[14:15], 0x2001
	v_mov_b32_e32 v29, 0
	s_branch .LBB44_6
.LBB44_5:                               ;   in Loop: Header=BB44_6 Depth=1
	s_add_u32 s8, s8, 0xffffe000
	s_addc_u32 s9, s9, -1
	s_addk_i32 s17, 0xe000
	s_add_i32 s16, s16, -1
	s_cmp_eq_u32 s16, 0
	v_lshl_add_u64 v[16:17], v[16:17], 0, s[4:5]
	s_mov_b64 s[12:13], -1
	s_cselect_b64 s[10:11], -1, 0
	s_barrier
	s_andn2_b64 vcc, exec, s[10:11]
	v_add_u16_e32 v29, v3, v29
	s_cbranch_vccz .LBB44_52
.LBB44_6:                               ; =>This Inner Loop Header: Depth=1
	v_cmp_lt_i64_e32 vcc, s[8:9], v[12:13]
	s_mov_b64 s[10:11], -1
                                        ; implicit-def: $vgpr3
	s_cbranch_vccnz .LBB44_9
; %bb.7:                                ;   in Loop: Header=BB44_6 Depth=1
	s_and_b64 vcc, exec, s[10:11]
	s_cbranch_vccnz .LBB44_31
.LBB44_8:                               ;   in Loop: Header=BB44_6 Depth=1
	v_cmp_lt_i64_e32 vcc, s[8:9], v[14:15]
	s_cbranch_vccz .LBB44_5
	s_branch .LBB44_36
.LBB44_9:                               ;   in Loop: Header=BB44_6 Depth=1
	v_mov_b32_e32 v4, v2
	v_mov_b32_e32 v5, v2
	v_mov_b32_e32 v6, v2
	v_mov_b32_e32 v7, v2
	v_mov_b32_e32 v8, v2
	v_mov_b32_e32 v9, v2
	v_mov_b32_e32 v3, v2
	v_mov_b64_e32 v[10:11], v[8:9]
	v_cmp_gt_u32_e32 vcc, s17, v0
	v_mov_b64_e32 v[8:9], v[6:7]
	v_mov_b64_e32 v[6:7], v[4:5]
	;; [unrolled: 1-line block ×3, first 2 shown]
	s_and_saveexec_b64 s[10:11], vcc
	s_cbranch_execnz .LBB44_37
; %bb.10:                               ;   in Loop: Header=BB44_6 Depth=1
	s_or_b64 exec, exec, s[10:11]
	v_cmp_gt_u32_e32 vcc, s17, v1
	s_and_saveexec_b64 s[10:11], vcc
	s_cbranch_execnz .LBB44_38
.LBB44_11:                              ;   in Loop: Header=BB44_6 Depth=1
	s_or_b64 exec, exec, s[10:11]
	v_cmp_gt_u32_e32 vcc, s17, v18
	s_and_saveexec_b64 s[10:11], vcc
	s_cbranch_execnz .LBB44_39
.LBB44_12:                              ;   in Loop: Header=BB44_6 Depth=1
	s_or_b64 exec, exec, s[10:11]
	v_cmp_gt_u32_e32 vcc, s17, v19
	s_and_saveexec_b64 s[10:11], vcc
	s_cbranch_execnz .LBB44_40
.LBB44_13:                              ;   in Loop: Header=BB44_6 Depth=1
	s_or_b64 exec, exec, s[10:11]
	v_cmp_gt_u32_e32 vcc, s17, v20
	s_and_saveexec_b64 s[10:11], vcc
	s_cbranch_execnz .LBB44_41
.LBB44_14:                              ;   in Loop: Header=BB44_6 Depth=1
	s_or_b64 exec, exec, s[10:11]
	v_cmp_gt_u32_e32 vcc, s17, v21
	s_and_saveexec_b64 s[10:11], vcc
	s_cbranch_execnz .LBB44_42
.LBB44_15:                              ;   in Loop: Header=BB44_6 Depth=1
	s_or_b64 exec, exec, s[10:11]
	v_cmp_gt_u32_e32 vcc, s17, v22
	s_and_saveexec_b64 s[10:11], vcc
	s_cbranch_execnz .LBB44_43
.LBB44_16:                              ;   in Loop: Header=BB44_6 Depth=1
	s_or_b64 exec, exec, s[10:11]
	v_cmp_gt_u32_e32 vcc, s17, v23
	s_and_saveexec_b64 s[10:11], vcc
	s_cbranch_execnz .LBB44_44
.LBB44_17:                              ;   in Loop: Header=BB44_6 Depth=1
	s_or_b64 exec, exec, s[10:11]
	v_cmp_gt_u32_e32 vcc, s17, v24
	s_and_saveexec_b64 s[10:11], vcc
	s_cbranch_execnz .LBB44_45
.LBB44_18:                              ;   in Loop: Header=BB44_6 Depth=1
	s_or_b64 exec, exec, s[10:11]
	v_cmp_gt_u32_e32 vcc, s17, v25
	s_and_saveexec_b64 s[10:11], vcc
	s_cbranch_execnz .LBB44_46
.LBB44_19:                              ;   in Loop: Header=BB44_6 Depth=1
	s_or_b64 exec, exec, s[10:11]
	v_cmp_gt_u32_e32 vcc, s17, v26
	s_and_saveexec_b64 s[10:11], vcc
	s_cbranch_execnz .LBB44_47
.LBB44_20:                              ;   in Loop: Header=BB44_6 Depth=1
	s_or_b64 exec, exec, s[10:11]
	v_cmp_gt_u32_e32 vcc, s17, v27
	s_and_saveexec_b64 s[10:11], vcc
	s_cbranch_execnz .LBB44_48
.LBB44_21:                              ;   in Loop: Header=BB44_6 Depth=1
	s_or_b64 exec, exec, s[10:11]
	v_cmp_gt_u32_e32 vcc, s17, v28
	s_and_saveexec_b64 s[10:11], vcc
	s_cbranch_execnz .LBB44_49
.LBB44_22:                              ;   in Loop: Header=BB44_6 Depth=1
	s_or_b64 exec, exec, s[10:11]
	v_cmp_gt_u32_e32 vcc, s17, v30
	s_and_saveexec_b64 s[10:11], vcc
	s_cbranch_execnz .LBB44_50
.LBB44_23:                              ;   in Loop: Header=BB44_6 Depth=1
	s_or_b64 exec, exec, s[10:11]
	v_cmp_gt_u32_e32 vcc, s17, v31
	s_and_saveexec_b64 s[10:11], vcc
	s_cbranch_execnz .LBB44_51
.LBB44_24:                              ;   in Loop: Header=BB44_6 Depth=1
	s_or_b64 exec, exec, s[10:11]
	v_cmp_gt_u32_e32 vcc, s17, v32
	s_and_saveexec_b64 s[10:11], vcc
	s_cbranch_execz .LBB44_26
.LBB44_25:                              ;   in Loop: Header=BB44_6 Depth=1
	v_add_co_u32_e32 v36, vcc, 0x3000, v16
	s_nop 1
	v_addc_co_u32_e32 v37, vcc, 0, v17, vcc
	global_load_ushort v3, v[36:37], off offset:3072
	s_waitcnt vmcnt(0)
	v_perm_b32 v11, v3, v11, s14
.LBB44_26:                              ;   in Loop: Header=BB44_6 Depth=1
	s_or_b64 exec, exec, s[10:11]
	v_add_u16_sdwa v3, v4, v4 dst_sel:DWORD dst_unused:UNUSED_PAD src0_sel:WORD_1 src1_sel:DWORD
	v_add_u16_e32 v3, v3, v5
	v_add_u16_sdwa v3, v3, v5 dst_sel:DWORD dst_unused:UNUSED_PAD src0_sel:DWORD src1_sel:WORD_1
	v_add_u16_e32 v3, v3, v6
	v_add_u16_sdwa v3, v3, v6 dst_sel:DWORD dst_unused:UNUSED_PAD src0_sel:DWORD src1_sel:WORD_1
	;; [unrolled: 2-line block ×7, first 2 shown]
	v_cmp_eq_u32_e32 vcc, 0, v34
	s_nop 0
	v_mov_b32_dpp v4, v3 quad_perm:[1,0,3,2] row_mask:0xf bank_mask:0xf
	v_add_u16_e32 v3, v3, v4
	s_barrier
	s_nop 0
	v_mov_b32_dpp v4, v3 quad_perm:[2,3,0,1] row_mask:0xf bank_mask:0xf
	v_add_u16_e32 v3, v3, v4
	s_nop 1
	v_mov_b32_dpp v4, v3 row_ror:4 row_mask:0xf bank_mask:0xf
	v_add_u16_e32 v3, v3, v4
	s_nop 1
	v_mov_b32_dpp v4, v3 row_ror:8 row_mask:0xf bank_mask:0xf
	v_add_u16_e32 v3, v3, v4
	s_nop 1
	v_mov_b32_dpp v4, v3 row_bcast:15 row_mask:0xf bank_mask:0xf
	v_add_u16_e32 v3, v3, v4
	v_lshlrev_b32_e32 v4, 2, v34
	v_or_b32_e32 v6, 0xfc, v4
	v_mov_b32_dpp v5, v3 row_bcast:31 row_mask:0xf bank_mask:0xf
	v_add_u16_e32 v3, v3, v5
	ds_bpermute_b32 v3, v6, v3
	s_and_saveexec_b64 s[10:11], vcc
	s_cbranch_execz .LBB44_28
; %bb.27:                               ;   in Loop: Header=BB44_6 Depth=1
	s_waitcnt lgkmcnt(0)
	ds_write_b16 v33, v3
.LBB44_28:                              ;   in Loop: Header=BB44_6 Depth=1
	s_or_b64 exec, exec, s[10:11]
	s_waitcnt lgkmcnt(0)
	s_barrier
	s_and_saveexec_b64 s[10:11], s[0:1]
	s_cbranch_execz .LBB44_30
; %bb.29:                               ;   in Loop: Header=BB44_6 Depth=1
	v_and_b32_e32 v3, 7, v34
	v_lshlrev_b32_e32 v5, 1, v3
	ds_read_u16 v5, v5
	v_cmp_ne_u32_e32 vcc, 7, v3
	v_or_b32_e32 v4, 16, v4
	s_waitcnt lgkmcnt(0)
	v_and_b32_e32 v7, 0xffff, v5
	v_addc_co_u32_e32 v6, vcc, 0, v34, vcc
	v_lshlrev_b32_e32 v6, 2, v6
	ds_bpermute_b32 v6, v6, v7
	v_cmp_gt_u32_e32 vcc, 6, v3
	s_waitcnt lgkmcnt(0)
	v_add_u16_e32 v5, v5, v6
	v_cndmask_b32_e64 v3, 0, 2, vcc
	v_add_lshl_u32 v3, v3, v34, 2
	ds_bpermute_b32 v3, v3, v5
	s_waitcnt lgkmcnt(0)
	v_add_u16_e32 v3, v5, v3
	ds_bpermute_b32 v4, v4, v3
	s_waitcnt lgkmcnt(0)
	v_add_u16_e32 v3, v3, v4
.LBB44_30:                              ;   in Loop: Header=BB44_6 Depth=1
	s_or_b64 exec, exec, s[10:11]
	s_branch .LBB44_8
.LBB44_31:                              ;   in Loop: Header=BB44_6 Depth=1
	global_load_ushort v3, v[16:17], off
	global_load_ushort v8, v[16:17], off offset:1024
	global_load_ushort v9, v[16:17], off offset:2048
	;; [unrolled: 1-line block ×3, first 2 shown]
	v_add_co_u32_e32 v4, vcc, 0x1000, v16
	s_waitcnt vmcnt(2)
	v_add_u16_e32 v3, v8, v3
	v_addc_co_u32_e32 v5, vcc, 0, v17, vcc
	v_add_co_u32_e32 v6, vcc, 0x2000, v16
	s_waitcnt vmcnt(1)
	v_add_u16_e32 v3, v3, v9
	v_addc_co_u32_e32 v7, vcc, 0, v17, vcc
	global_load_ushort v11, v[4:5], off
	global_load_ushort v35, v[4:5], off offset:1024
	global_load_ushort v36, v[4:5], off offset:2048
	;; [unrolled: 1-line block ×3, first 2 shown]
	global_load_ushort v38, v[6:7], off
	global_load_ushort v39, v[6:7], off offset:1024
	global_load_ushort v40, v[6:7], off offset:2048
	;; [unrolled: 1-line block ×3, first 2 shown]
	v_add_co_u32_e32 v4, vcc, 0x3000, v16
	s_waitcnt vmcnt(8)
	v_add_u16_e32 v3, v3, v10
	v_addc_co_u32_e32 v5, vcc, 0, v17, vcc
	global_load_ushort v6, v[4:5], off
	global_load_ushort v7, v[4:5], off offset:1024
	global_load_ushort v42, v[4:5], off offset:2048
	;; [unrolled: 1-line block ×3, first 2 shown]
	v_lshlrev_b32_e32 v4, 2, v34
	v_cmp_eq_u32_e32 vcc, 0, v34
	s_barrier
	s_waitcnt vmcnt(11)
	v_add_u16_e32 v3, v3, v11
	s_waitcnt vmcnt(10)
	v_add_u16_e32 v3, v3, v35
	;; [unrolled: 2-line block ×12, first 2 shown]
	v_or_b32_e32 v6, 0xfc, v4
	s_nop 0
	v_mov_b32_dpp v5, v3 quad_perm:[1,0,3,2] row_mask:0xf bank_mask:0xf
	v_add_u16_e32 v3, v3, v5
	s_nop 1
	v_mov_b32_dpp v5, v3 quad_perm:[2,3,0,1] row_mask:0xf bank_mask:0xf
	v_add_u16_e32 v3, v3, v5
	s_nop 1
	v_mov_b32_dpp v5, v3 row_ror:4 row_mask:0xf bank_mask:0xf
	v_add_u16_e32 v3, v3, v5
	s_nop 1
	v_mov_b32_dpp v5, v3 row_ror:8 row_mask:0xf bank_mask:0xf
	v_add_u16_e32 v3, v3, v5
	s_nop 1
	v_mov_b32_dpp v5, v3 row_bcast:15 row_mask:0xf bank_mask:0xf
	v_add_u16_e32 v3, v3, v5
	s_nop 1
	v_mov_b32_dpp v5, v3 row_bcast:31 row_mask:0xf bank_mask:0xf
	v_add_u16_e32 v3, v3, v5
	ds_bpermute_b32 v3, v6, v3
	s_and_saveexec_b64 s[10:11], vcc
	s_cbranch_execz .LBB44_33
; %bb.32:                               ;   in Loop: Header=BB44_6 Depth=1
	s_waitcnt lgkmcnt(0)
	ds_write_b16 v33, v3
.LBB44_33:                              ;   in Loop: Header=BB44_6 Depth=1
	s_or_b64 exec, exec, s[10:11]
	s_waitcnt lgkmcnt(0)
	s_barrier
	s_and_saveexec_b64 s[10:11], s[0:1]
	s_cbranch_execz .LBB44_35
; %bb.34:                               ;   in Loop: Header=BB44_6 Depth=1
	v_and_b32_e32 v3, 7, v34
	v_lshlrev_b32_e32 v5, 1, v3
	ds_read_u16 v5, v5
	v_cmp_ne_u32_e32 vcc, 7, v3
	v_or_b32_e32 v4, 16, v4
	s_waitcnt lgkmcnt(0)
	v_and_b32_e32 v7, 0xffff, v5
	v_addc_co_u32_e32 v6, vcc, 0, v34, vcc
	v_lshlrev_b32_e32 v6, 2, v6
	ds_bpermute_b32 v6, v6, v7
	v_cmp_gt_u32_e32 vcc, 6, v3
	s_waitcnt lgkmcnt(0)
	v_add_u16_e32 v5, v5, v6
	v_cndmask_b32_e64 v3, 0, 2, vcc
	v_add_lshl_u32 v3, v3, v34, 2
	ds_bpermute_b32 v3, v3, v5
	s_waitcnt lgkmcnt(0)
	v_add_u16_e32 v3, v5, v3
	ds_bpermute_b32 v4, v4, v3
	s_waitcnt lgkmcnt(0)
	v_add_u16_e32 v3, v3, v4
.LBB44_35:                              ;   in Loop: Header=BB44_6 Depth=1
	s_or_b64 exec, exec, s[10:11]
	v_cmp_lt_i64_e32 vcc, s[8:9], v[14:15]
	s_cbranch_vccz .LBB44_5
.LBB44_36:
	s_mov_b64 s[12:13], 0
                                        ; implicit-def: $sgpr8_sgpr9
                                        ; implicit-def: $sgpr17
                                        ; implicit-def: $sgpr16
                                        ; implicit-def: $vgpr16_vgpr17
	v_add_u16_e32 v29, v3, v29
	s_branch .LBB44_52
.LBB44_37:                              ;   in Loop: Header=BB44_6 Depth=1
	global_load_ushort v3, v[16:17], off
	v_mov_b32_e32 v5, v2
	v_mov_b32_e32 v6, v2
	;; [unrolled: 1-line block ×7, first 2 shown]
	s_waitcnt vmcnt(0)
	v_and_b32_e32 v4, 0xffff, v3
	s_or_b64 exec, exec, s[10:11]
	v_cmp_gt_u32_e32 vcc, s17, v1
	s_and_saveexec_b64 s[10:11], vcc
	s_cbranch_execz .LBB44_11
.LBB44_38:                              ;   in Loop: Header=BB44_6 Depth=1
	global_load_ushort v3, v[16:17], off offset:1024
	s_waitcnt vmcnt(0)
	v_perm_b32 v4, v3, v4, s14
	s_or_b64 exec, exec, s[10:11]
	v_cmp_gt_u32_e32 vcc, s17, v18
	s_and_saveexec_b64 s[10:11], vcc
	s_cbranch_execz .LBB44_12
.LBB44_39:                              ;   in Loop: Header=BB44_6 Depth=1
	global_load_ushort v3, v[16:17], off offset:2048
	s_waitcnt vmcnt(0)
	v_bfi_b32 v5, s15, v3, v5
	s_or_b64 exec, exec, s[10:11]
	v_cmp_gt_u32_e32 vcc, s17, v19
	s_and_saveexec_b64 s[10:11], vcc
	s_cbranch_execz .LBB44_13
.LBB44_40:                              ;   in Loop: Header=BB44_6 Depth=1
	global_load_ushort v3, v[16:17], off offset:3072
	s_waitcnt vmcnt(0)
	v_perm_b32 v5, v3, v5, s14
	s_or_b64 exec, exec, s[10:11]
	v_cmp_gt_u32_e32 vcc, s17, v20
	s_and_saveexec_b64 s[10:11], vcc
	s_cbranch_execz .LBB44_14
.LBB44_41:                              ;   in Loop: Header=BB44_6 Depth=1
	v_add_co_u32_e32 v36, vcc, 0x1000, v16
	s_nop 1
	v_addc_co_u32_e32 v37, vcc, 0, v17, vcc
	global_load_ushort v3, v[36:37], off
	s_waitcnt vmcnt(0)
	v_bfi_b32 v6, s15, v3, v6
	s_or_b64 exec, exec, s[10:11]
	v_cmp_gt_u32_e32 vcc, s17, v21
	s_and_saveexec_b64 s[10:11], vcc
	s_cbranch_execz .LBB44_15
.LBB44_42:                              ;   in Loop: Header=BB44_6 Depth=1
	v_add_co_u32_e32 v36, vcc, 0x1000, v16
	s_nop 1
	v_addc_co_u32_e32 v37, vcc, 0, v17, vcc
	global_load_ushort v3, v[36:37], off offset:1024
	s_waitcnt vmcnt(0)
	v_perm_b32 v6, v3, v6, s14
	s_or_b64 exec, exec, s[10:11]
	v_cmp_gt_u32_e32 vcc, s17, v22
	s_and_saveexec_b64 s[10:11], vcc
	s_cbranch_execz .LBB44_16
.LBB44_43:                              ;   in Loop: Header=BB44_6 Depth=1
	v_add_co_u32_e32 v36, vcc, 0x1000, v16
	s_nop 1
	v_addc_co_u32_e32 v37, vcc, 0, v17, vcc
	global_load_ushort v3, v[36:37], off offset:2048
	s_waitcnt vmcnt(0)
	v_bfi_b32 v7, s15, v3, v7
	s_or_b64 exec, exec, s[10:11]
	v_cmp_gt_u32_e32 vcc, s17, v23
	s_and_saveexec_b64 s[10:11], vcc
	s_cbranch_execz .LBB44_17
.LBB44_44:                              ;   in Loop: Header=BB44_6 Depth=1
	v_add_co_u32_e32 v36, vcc, 0x1000, v16
	s_nop 1
	v_addc_co_u32_e32 v37, vcc, 0, v17, vcc
	global_load_ushort v3, v[36:37], off offset:3072
	s_waitcnt vmcnt(0)
	v_perm_b32 v7, v3, v7, s14
	s_or_b64 exec, exec, s[10:11]
	v_cmp_gt_u32_e32 vcc, s17, v24
	s_and_saveexec_b64 s[10:11], vcc
	s_cbranch_execz .LBB44_18
.LBB44_45:                              ;   in Loop: Header=BB44_6 Depth=1
	v_add_co_u32_e32 v36, vcc, 0x2000, v16
	s_nop 1
	v_addc_co_u32_e32 v37, vcc, 0, v17, vcc
	global_load_ushort v3, v[36:37], off
	s_waitcnt vmcnt(0)
	v_bfi_b32 v8, s15, v3, v8
	s_or_b64 exec, exec, s[10:11]
	v_cmp_gt_u32_e32 vcc, s17, v25
	s_and_saveexec_b64 s[10:11], vcc
	s_cbranch_execz .LBB44_19
.LBB44_46:                              ;   in Loop: Header=BB44_6 Depth=1
	v_add_co_u32_e32 v36, vcc, 0x2000, v16
	s_nop 1
	v_addc_co_u32_e32 v37, vcc, 0, v17, vcc
	global_load_ushort v3, v[36:37], off offset:1024
	s_waitcnt vmcnt(0)
	v_perm_b32 v8, v3, v8, s14
	s_or_b64 exec, exec, s[10:11]
	v_cmp_gt_u32_e32 vcc, s17, v26
	s_and_saveexec_b64 s[10:11], vcc
	s_cbranch_execz .LBB44_20
.LBB44_47:                              ;   in Loop: Header=BB44_6 Depth=1
	v_add_co_u32_e32 v36, vcc, 0x2000, v16
	s_nop 1
	v_addc_co_u32_e32 v37, vcc, 0, v17, vcc
	global_load_ushort v3, v[36:37], off offset:2048
	s_waitcnt vmcnt(0)
	v_bfi_b32 v9, s15, v3, v9
	s_or_b64 exec, exec, s[10:11]
	v_cmp_gt_u32_e32 vcc, s17, v27
	s_and_saveexec_b64 s[10:11], vcc
	s_cbranch_execz .LBB44_21
.LBB44_48:                              ;   in Loop: Header=BB44_6 Depth=1
	v_add_co_u32_e32 v36, vcc, 0x2000, v16
	s_nop 1
	v_addc_co_u32_e32 v37, vcc, 0, v17, vcc
	global_load_ushort v3, v[36:37], off offset:3072
	s_waitcnt vmcnt(0)
	v_perm_b32 v9, v3, v9, s14
	s_or_b64 exec, exec, s[10:11]
	v_cmp_gt_u32_e32 vcc, s17, v28
	s_and_saveexec_b64 s[10:11], vcc
	s_cbranch_execz .LBB44_22
.LBB44_49:                              ;   in Loop: Header=BB44_6 Depth=1
	v_add_co_u32_e32 v36, vcc, 0x3000, v16
	s_nop 1
	v_addc_co_u32_e32 v37, vcc, 0, v17, vcc
	global_load_ushort v3, v[36:37], off
	s_waitcnt vmcnt(0)
	v_bfi_b32 v10, s15, v3, v10
	s_or_b64 exec, exec, s[10:11]
	v_cmp_gt_u32_e32 vcc, s17, v30
	s_and_saveexec_b64 s[10:11], vcc
	s_cbranch_execz .LBB44_23
.LBB44_50:                              ;   in Loop: Header=BB44_6 Depth=1
	v_add_co_u32_e32 v36, vcc, 0x3000, v16
	s_nop 1
	v_addc_co_u32_e32 v37, vcc, 0, v17, vcc
	global_load_ushort v3, v[36:37], off offset:1024
	s_waitcnt vmcnt(0)
	v_perm_b32 v10, v3, v10, s14
	s_or_b64 exec, exec, s[10:11]
	v_cmp_gt_u32_e32 vcc, s17, v31
	s_and_saveexec_b64 s[10:11], vcc
	s_cbranch_execz .LBB44_24
.LBB44_51:                              ;   in Loop: Header=BB44_6 Depth=1
	v_add_co_u32_e32 v36, vcc, 0x3000, v16
	s_nop 1
	v_addc_co_u32_e32 v37, vcc, 0, v17, vcc
	global_load_ushort v3, v[36:37], off offset:2048
	s_waitcnt vmcnt(0)
	v_bfi_b32 v11, s15, v3, v11
	s_or_b64 exec, exec, s[10:11]
	v_cmp_gt_u32_e32 vcc, s17, v32
	s_and_saveexec_b64 s[10:11], vcc
	s_cbranch_execnz .LBB44_25
	s_branch .LBB44_26
.LBB44_52:
	v_cmp_eq_u32_e32 vcc, 0, v0
	s_and_b64 s[0:1], vcc, s[12:13]
	s_waitcnt lgkmcnt(0)
	s_and_saveexec_b64 s[4:5], s[0:1]
	s_cbranch_execz .LBB44_54
; %bb.53:
	s_lshl_b64 s[0:1], s[2:3], 1
	s_add_u32 s0, s6, s0
	s_addc_u32 s1, s7, s1
	v_mov_b32_e32 v0, 0
	global_store_short v0, v29, s[0:1]
.LBB44_54:
	s_endpgm
	.section	.rodata,"a",@progbits
	.p2align	6, 0x0
	.amdhsa_kernel _ZN2at4cuda3cub15calc_block_sumsILi512ELi16ELb0EssEEvPKT2_PT3_li
		.amdhsa_group_segment_fixed_size 16
		.amdhsa_private_segment_fixed_size 0
		.amdhsa_kernarg_size 28
		.amdhsa_user_sgpr_count 2
		.amdhsa_user_sgpr_dispatch_ptr 0
		.amdhsa_user_sgpr_queue_ptr 0
		.amdhsa_user_sgpr_kernarg_segment_ptr 1
		.amdhsa_user_sgpr_dispatch_id 0
		.amdhsa_user_sgpr_kernarg_preload_length 0
		.amdhsa_user_sgpr_kernarg_preload_offset 0
		.amdhsa_user_sgpr_private_segment_size 0
		.amdhsa_uses_dynamic_stack 0
		.amdhsa_enable_private_segment 0
		.amdhsa_system_sgpr_workgroup_id_x 1
		.amdhsa_system_sgpr_workgroup_id_y 0
		.amdhsa_system_sgpr_workgroup_id_z 0
		.amdhsa_system_sgpr_workgroup_info 0
		.amdhsa_system_vgpr_workitem_id 0
		.amdhsa_next_free_vgpr 44
		.amdhsa_next_free_sgpr 18
		.amdhsa_accum_offset 44
		.amdhsa_reserve_vcc 1
		.amdhsa_float_round_mode_32 0
		.amdhsa_float_round_mode_16_64 0
		.amdhsa_float_denorm_mode_32 3
		.amdhsa_float_denorm_mode_16_64 3
		.amdhsa_dx10_clamp 1
		.amdhsa_ieee_mode 1
		.amdhsa_fp16_overflow 0
		.amdhsa_tg_split 0
		.amdhsa_exception_fp_ieee_invalid_op 0
		.amdhsa_exception_fp_denorm_src 0
		.amdhsa_exception_fp_ieee_div_zero 0
		.amdhsa_exception_fp_ieee_overflow 0
		.amdhsa_exception_fp_ieee_underflow 0
		.amdhsa_exception_fp_ieee_inexact 0
		.amdhsa_exception_int_div_zero 0
	.end_amdhsa_kernel
	.section	.text._ZN2at4cuda3cub15calc_block_sumsILi512ELi16ELb0EssEEvPKT2_PT3_li,"axG",@progbits,_ZN2at4cuda3cub15calc_block_sumsILi512ELi16ELb0EssEEvPKT2_PT3_li,comdat
.Lfunc_end44:
	.size	_ZN2at4cuda3cub15calc_block_sumsILi512ELi16ELb0EssEEvPKT2_PT3_li, .Lfunc_end44-_ZN2at4cuda3cub15calc_block_sumsILi512ELi16ELb0EssEEvPKT2_PT3_li
                                        ; -- End function
	.set _ZN2at4cuda3cub15calc_block_sumsILi512ELi16ELb0EssEEvPKT2_PT3_li.num_vgpr, 44
	.set _ZN2at4cuda3cub15calc_block_sumsILi512ELi16ELb0EssEEvPKT2_PT3_li.num_agpr, 0
	.set _ZN2at4cuda3cub15calc_block_sumsILi512ELi16ELb0EssEEvPKT2_PT3_li.numbered_sgpr, 18
	.set _ZN2at4cuda3cub15calc_block_sumsILi512ELi16ELb0EssEEvPKT2_PT3_li.num_named_barrier, 0
	.set _ZN2at4cuda3cub15calc_block_sumsILi512ELi16ELb0EssEEvPKT2_PT3_li.private_seg_size, 0
	.set _ZN2at4cuda3cub15calc_block_sumsILi512ELi16ELb0EssEEvPKT2_PT3_li.uses_vcc, 1
	.set _ZN2at4cuda3cub15calc_block_sumsILi512ELi16ELb0EssEEvPKT2_PT3_li.uses_flat_scratch, 0
	.set _ZN2at4cuda3cub15calc_block_sumsILi512ELi16ELb0EssEEvPKT2_PT3_li.has_dyn_sized_stack, 0
	.set _ZN2at4cuda3cub15calc_block_sumsILi512ELi16ELb0EssEEvPKT2_PT3_li.has_recursion, 0
	.set _ZN2at4cuda3cub15calc_block_sumsILi512ELi16ELb0EssEEvPKT2_PT3_li.has_indirect_call, 0
	.section	.AMDGPU.csdata,"",@progbits
; Kernel info:
; codeLenInByte = 2536
; TotalNumSgprs: 24
; NumVgprs: 44
; NumAgprs: 0
; TotalNumVgprs: 44
; ScratchSize: 0
; MemoryBound: 0
; FloatMode: 240
; IeeeMode: 1
; LDSByteSize: 16 bytes/workgroup (compile time only)
; SGPRBlocks: 2
; VGPRBlocks: 5
; NumSGPRsForWavesPerEU: 24
; NumVGPRsForWavesPerEU: 44
; AccumOffset: 44
; Occupancy: 8
; WaveLimiterHint : 1
; COMPUTE_PGM_RSRC2:SCRATCH_EN: 0
; COMPUTE_PGM_RSRC2:USER_SGPR: 2
; COMPUTE_PGM_RSRC2:TRAP_HANDLER: 0
; COMPUTE_PGM_RSRC2:TGID_X_EN: 1
; COMPUTE_PGM_RSRC2:TGID_Y_EN: 0
; COMPUTE_PGM_RSRC2:TGID_Z_EN: 0
; COMPUTE_PGM_RSRC2:TIDIG_COMP_CNT: 0
; COMPUTE_PGM_RSRC3_GFX90A:ACCUM_OFFSET: 10
; COMPUTE_PGM_RSRC3_GFX90A:TG_SPLIT: 0
	.section	.text._ZN2at4cuda3cub17final_scan_kernelILi512ELi16EsEEvPKT1_PS3_S6_li,"axG",@progbits,_ZN2at4cuda3cub17final_scan_kernelILi512ELi16EsEEvPKT1_PS3_S6_li,comdat
	.protected	_ZN2at4cuda3cub17final_scan_kernelILi512ELi16EsEEvPKT1_PS3_S6_li ; -- Begin function _ZN2at4cuda3cub17final_scan_kernelILi512ELi16EsEEvPKT1_PS3_S6_li
	.globl	_ZN2at4cuda3cub17final_scan_kernelILi512ELi16EsEEvPKT1_PS3_S6_li
	.p2align	8
	.type	_ZN2at4cuda3cub17final_scan_kernelILi512ELi16EsEEvPKT1_PS3_S6_li,@function
_ZN2at4cuda3cub17final_scan_kernelILi512ELi16EsEEvPKT1_PS3_S6_li: ; @_ZN2at4cuda3cub17final_scan_kernelILi512ELi16EsEEvPKT1_PS3_S6_li
; %bb.0:
	s_load_dword s33, s[0:1], 0x20
	s_load_dwordx8 s[36:43], s[0:1], 0x0
	s_waitcnt lgkmcnt(0)
	s_lshl_b32 s3, s33, 13
	s_ashr_i32 s4, s3, 31
	s_mul_hi_u32 s5, s3, s2
	s_mul_i32 s4, s4, s2
	s_add_i32 s31, s5, s4
	s_mul_i32 s30, s3, s2
	s_sub_u32 s44, s42, s30
	s_subb_u32 s45, s43, s31
	v_cmp_lt_i64_e64 s[4:5], s[44:45], 1
	s_and_b64 vcc, exec, s[4:5]
	s_cbranch_vccnz .LBB45_98
; %bb.1:
	v_cmp_gt_u32_e32 vcc, s2, v0
	v_mov_b32_e32 v4, 0
	v_lshlrev_b32_e32 v20, 1, v0
	s_and_saveexec_b64 s[4:5], vcc
	s_cbranch_execz .LBB45_3
; %bb.2:
	global_load_ushort v4, v20, s[40:41]
.LBB45_3:
	s_or_b64 exec, exec, s[4:5]
	s_load_dword s0, s[0:1], 0x34
	s_waitcnt lgkmcnt(0)
	s_and_b32 s3, s0, 0xffff
	v_add_u32_e32 v2, s3, v0
	v_cmp_gt_u32_e32 vcc, s2, v2
	s_and_saveexec_b64 s[0:1], vcc
	s_cbranch_execz .LBB45_7
; %bb.4:
	s_mov_b64 s[4:5], 0
	v_mov_b32_e32 v3, 0
.LBB45_5:                               ; =>This Inner Loop Header: Depth=1
	v_lshl_add_u64 v[6:7], v[2:3], 1, s[40:41]
	global_load_ushort v1, v[6:7], off
	v_add_u32_e32 v2, s3, v2
	v_cmp_le_u32_e32 vcc, s2, v2
	s_or_b64 s[4:5], vcc, s[4:5]
	s_waitcnt vmcnt(0)
	v_add_u16_e32 v4, v1, v4
	s_andn2_b64 exec, exec, s[4:5]
	s_cbranch_execnz .LBB45_5
; %bb.6:
	s_or_b64 exec, exec, s[4:5]
.LBB45_7:
	s_or_b64 exec, exec, s[0:1]
	s_waitcnt vmcnt(0)
	v_and_b32_e32 v2, 0xffff, v4
	v_mbcnt_lo_u32_b32 v1, -1, 0
	v_mbcnt_hi_u32_b32 v1, -1, v1
	v_mov_b32_dpp v2, v2 quad_perm:[1,0,3,2] row_mask:0xf bank_mask:0xf
	v_add_u16_e32 v2, v4, v2
	v_cmp_eq_u32_e64 s[0:1], 0, v1
	s_nop 0
	v_mov_b32_dpp v3, v2 quad_perm:[2,3,0,1] row_mask:0xf bank_mask:0xf
	v_add_u16_e32 v2, v2, v3
	s_nop 1
	v_mov_b32_dpp v3, v2 row_ror:4 row_mask:0xf bank_mask:0xf
	v_add_u16_e32 v2, v2, v3
	s_nop 1
	v_mov_b32_dpp v3, v2 row_ror:8 row_mask:0xf bank_mask:0xf
	v_add_u16_e32 v2, v2, v3
	s_nop 1
	v_mov_b32_dpp v3, v2 row_bcast:15 row_mask:0xf bank_mask:0xf
	v_add_u16_e32 v2, v2, v3
	v_lshlrev_b32_e32 v3, 2, v1
	v_or_b32_e32 v5, 0xfc, v3
	v_mov_b32_dpp v4, v2 row_bcast:31 row_mask:0xf bank_mask:0xf
	v_add_u16_e32 v2, v2, v4
	ds_bpermute_b32 v21, v5, v2
	s_and_saveexec_b64 s[4:5], s[0:1]
	s_cbranch_execz .LBB45_9
; %bb.8:
	v_lshrrev_b32_e32 v2, 5, v0
	v_and_b32_e32 v2, 30, v2
	s_waitcnt lgkmcnt(0)
	ds_write_b16 v2, v21
.LBB45_9:
	s_or_b64 exec, exec, s[4:5]
	v_cmp_lt_u32_e64 s[34:35], 63, v0
	v_cmp_gt_u32_e64 s[4:5], 64, v0
	v_and_b32_e32 v2, 7, v1
	s_waitcnt lgkmcnt(0)
	s_barrier
	s_and_saveexec_b64 s[6:7], s[4:5]
	s_cbranch_execz .LBB45_11
; %bb.10:
	v_lshlrev_b32_e32 v4, 1, v2
	ds_read_u16 v4, v4
	v_cmp_ne_u32_e32 vcc, 7, v2
	v_or_b32_e32 v3, 16, v3
	s_waitcnt lgkmcnt(0)
	v_and_b32_e32 v6, 0xffff, v4
	v_addc_co_u32_e32 v5, vcc, 0, v1, vcc
	v_lshlrev_b32_e32 v5, 2, v5
	ds_bpermute_b32 v5, v5, v6
	v_cmp_gt_u32_e32 vcc, 6, v2
	s_waitcnt lgkmcnt(0)
	v_add_u16_e32 v4, v4, v5
	v_cndmask_b32_e64 v6, 0, 2, vcc
	v_add_lshl_u32 v6, v6, v1, 2
	ds_bpermute_b32 v5, v6, v4
	s_waitcnt lgkmcnt(0)
	v_add_u16_e32 v4, v4, v5
	ds_bpermute_b32 v3, v3, v4
	s_waitcnt lgkmcnt(0)
	v_add_u16_e32 v21, v4, v3
.LBB45_11:
	s_or_b64 exec, exec, s[6:7]
	s_cmp_lt_i32 s33, 1
	s_barrier
	s_cbranch_scc1 .LBB45_98
; %bb.12:
	v_lshlrev_b32_e32 v3, 4, v0
	s_movk_i32 s3, 0x3c00
	v_and_or_b32 v22, v3, s3, v1
	v_lshrrev_b32_e32 v3, 4, v22
	v_add_u32_e32 v23, 64, v22
	v_and_b32_e32 v3, 0x3c4, v3
	v_lshlrev_b32_e32 v4, 1, v22
	v_add_u32_e32 v38, v3, v4
	v_lshrrev_b32_e32 v3, 4, v23
	v_or_b32_e32 v24, 0x80, v22
	v_and_b32_e32 v3, 0x3cc, v3
	v_add_u32_e32 v39, v3, v4
	v_lshrrev_b32_e32 v3, 4, v24
	v_add_u32_e32 v25, 0xc0, v22
	v_and_b32_e32 v3, 0x3cc, v3
	v_add_u32_e32 v40, v3, v4
	v_lshrrev_b32_e32 v3, 4, v25
	v_or_b32_e32 v26, 0x100, v22
	v_and_b32_e32 v3, 0x3dc, v3
	v_add_u32_e32 v41, v3, v4
	v_lshrrev_b32_e32 v3, 4, v26
	v_add_u32_e32 v27, 0x140, v22
	v_and_b32_e32 v3, 0x3d4, v3
	;; [unrolled: 8-line block ×7, first 2 shown]
	v_add_u32_e32 v52, v3, v4
	v_lshrrev_b32_e32 v3, 4, v37
	v_and_b32_e32 v3, 0x7fc, v3
	v_add_u32_e32 v53, v3, v4
	v_and_b32_e32 v3, 0x3c0, v0
	v_add_u16_e32 v5, v1, v3
	v_add_lshl_u32 v4, v1, v3, 4
	v_lshrrev_b16_e32 v5, 1, v5
	v_min_u32_e32 v3, 0x1c0, v3
	v_and_b32_e32 v5, 0x3fe, v5
	v_or_b32_e32 v3, 63, v3
	v_add_lshl_u32 v54, v5, v4, 1
	v_and_b32_e32 v4, 15, v1
	v_cmp_eq_u32_e64 s[18:19], v0, v3
	v_cmp_eq_u32_e64 s[22:23], 0, v2
	v_cmp_lt_u32_e64 s[24:25], 1, v2
	v_cmp_lt_u32_e64 s[26:27], 3, v2
	v_add_u32_e32 v2, -1, v1
	v_and_b32_e32 v3, 64, v1
	v_cmp_eq_u32_e64 s[6:7], 0, v4
	v_cmp_lt_u32_e64 s[8:9], 1, v4
	v_cmp_lt_u32_e64 s[10:11], 3, v4
	;; [unrolled: 1-line block ×3, first 2 shown]
	v_and_b32_e32 v4, 16, v1
	v_cmp_lt_i32_e32 vcc, v2, v3
	v_cmp_eq_u32_e64 s[14:15], 0, v4
	v_lshrrev_b32_e32 v4, 6, v0
	v_cmp_gt_u32_e64 s[20:21], 8, v0
	v_cndmask_b32_e32 v2, v2, v1, vcc
	v_cmp_eq_u32_e64 s[28:29], 0, v0
	v_mov_b32_e32 v0, 0
	v_lshlrev_b32_e32 v56, 2, v2
	v_lshlrev_b32_e32 v2, 11, v4
	v_mov_b32_e32 v3, v0
	v_lshl_add_u64 v[2:3], s[30:31], 1, v[2:3]
	s_mul_i32 s2, s2, s33
	v_lshlrev_b32_e32 v55, 1, v4
	v_lshl_add_u64 v[4:5], s[38:39], 0, v[2:3]
	s_mov_b64 s[30:31], 0x780
	s_lshl_b32 s2, s2, 13
	v_cmp_lt_u32_e64 s[16:17], 31, v1
	v_lshlrev_b32_e32 v10, 1, v1
	v_mov_b32_e32 v11, v0
	v_lshl_add_u64 v[12:13], v[4:5], 0, s[30:31]
	v_lshl_add_u64 v[14:15], s[36:37], 0, v[2:3]
	s_sub_i32 s38, s42, s2
	s_mov_b32 s39, 0x5040100
	s_mov_b32 s40, 0xffff
	s_mov_b64 s[2:3], 0x4000
	v_mov_b64_e32 v[16:17], 0x2001
	s_branch .LBB45_14
.LBB45_13:                              ;   in Loop: Header=BB45_14 Depth=1
	s_andn2_b64 vcc, exec, s[30:31]
	s_cbranch_vccz .LBB45_98
.LBB45_14:                              ; =>This Inner Loop Header: Depth=1
	v_mov_b64_e32 v[2:3], 0x1fff
	v_cmp_gt_i64_e32 vcc, s[44:45], v[2:3]
	s_mov_b64 s[36:37], -1
	v_cmp_gt_u32_e64 s[30:31], s38, v22
	s_cbranch_vccnz .LBB45_33
; %bb.15:                               ;   in Loop: Header=BB45_14 Depth=1
	v_mov_b32_e32 v2, v0
	v_mov_b32_e32 v3, v0
	;; [unrolled: 1-line block ×7, first 2 shown]
	v_mov_b64_e32 v[8:9], v[6:7]
	s_waitcnt lgkmcnt(0)
	v_lshl_add_u64 v[18:19], v[14:15], 0, v[10:11]
	v_mov_b64_e32 v[6:7], v[4:5]
	v_mov_b64_e32 v[4:5], v[2:3]
	;; [unrolled: 1-line block ×3, first 2 shown]
	s_and_saveexec_b64 s[36:37], s[30:31]
	s_cbranch_execnz .LBB45_83
; %bb.16:                               ;   in Loop: Header=BB45_14 Depth=1
	s_or_b64 exec, exec, s[36:37]
	v_cmp_gt_u32_e32 vcc, s38, v23
	s_and_saveexec_b64 s[30:31], vcc
	s_cbranch_execnz .LBB45_84
.LBB45_17:                              ;   in Loop: Header=BB45_14 Depth=1
	s_or_b64 exec, exec, s[30:31]
	v_cmp_gt_u32_e32 vcc, s38, v24
	s_and_saveexec_b64 s[30:31], vcc
	s_cbranch_execnz .LBB45_85
.LBB45_18:                              ;   in Loop: Header=BB45_14 Depth=1
	s_or_b64 exec, exec, s[30:31]
	v_cmp_gt_u32_e32 vcc, s38, v25
	s_and_saveexec_b64 s[30:31], vcc
	s_cbranch_execnz .LBB45_86
.LBB45_19:                              ;   in Loop: Header=BB45_14 Depth=1
	s_or_b64 exec, exec, s[30:31]
	v_cmp_gt_u32_e32 vcc, s38, v26
	s_and_saveexec_b64 s[30:31], vcc
	s_cbranch_execnz .LBB45_87
.LBB45_20:                              ;   in Loop: Header=BB45_14 Depth=1
	s_or_b64 exec, exec, s[30:31]
	v_cmp_gt_u32_e32 vcc, s38, v27
	s_and_saveexec_b64 s[30:31], vcc
	s_cbranch_execnz .LBB45_88
.LBB45_21:                              ;   in Loop: Header=BB45_14 Depth=1
	s_or_b64 exec, exec, s[30:31]
	v_cmp_gt_u32_e32 vcc, s38, v28
	s_and_saveexec_b64 s[30:31], vcc
	s_cbranch_execnz .LBB45_89
.LBB45_22:                              ;   in Loop: Header=BB45_14 Depth=1
	s_or_b64 exec, exec, s[30:31]
	v_cmp_gt_u32_e32 vcc, s38, v29
	s_and_saveexec_b64 s[30:31], vcc
	s_cbranch_execnz .LBB45_90
.LBB45_23:                              ;   in Loop: Header=BB45_14 Depth=1
	s_or_b64 exec, exec, s[30:31]
	v_cmp_gt_u32_e32 vcc, s38, v30
	s_and_saveexec_b64 s[30:31], vcc
	s_cbranch_execnz .LBB45_91
.LBB45_24:                              ;   in Loop: Header=BB45_14 Depth=1
	s_or_b64 exec, exec, s[30:31]
	v_cmp_gt_u32_e32 vcc, s38, v31
	s_and_saveexec_b64 s[30:31], vcc
	s_cbranch_execnz .LBB45_92
.LBB45_25:                              ;   in Loop: Header=BB45_14 Depth=1
	s_or_b64 exec, exec, s[30:31]
	v_cmp_gt_u32_e32 vcc, s38, v32
	s_and_saveexec_b64 s[30:31], vcc
	s_cbranch_execnz .LBB45_93
.LBB45_26:                              ;   in Loop: Header=BB45_14 Depth=1
	s_or_b64 exec, exec, s[30:31]
	v_cmp_gt_u32_e32 vcc, s38, v33
	s_and_saveexec_b64 s[30:31], vcc
	s_cbranch_execnz .LBB45_94
.LBB45_27:                              ;   in Loop: Header=BB45_14 Depth=1
	s_or_b64 exec, exec, s[30:31]
	v_cmp_gt_u32_e32 vcc, s38, v34
	s_and_saveexec_b64 s[30:31], vcc
	s_cbranch_execnz .LBB45_95
.LBB45_28:                              ;   in Loop: Header=BB45_14 Depth=1
	s_or_b64 exec, exec, s[30:31]
	v_cmp_gt_u32_e32 vcc, s38, v35
	s_and_saveexec_b64 s[30:31], vcc
	s_cbranch_execnz .LBB45_96
.LBB45_29:                              ;   in Loop: Header=BB45_14 Depth=1
	s_or_b64 exec, exec, s[30:31]
	v_cmp_gt_u32_e32 vcc, s38, v36
	s_and_saveexec_b64 s[30:31], vcc
	s_cbranch_execnz .LBB45_97
.LBB45_30:                              ;   in Loop: Header=BB45_14 Depth=1
	s_or_b64 exec, exec, s[30:31]
	v_cmp_gt_u32_e32 vcc, s38, v37
	s_and_saveexec_b64 s[30:31], vcc
	s_cbranch_execz .LBB45_32
.LBB45_31:                              ;   in Loop: Header=BB45_14 Depth=1
	global_load_ushort v1, v[18:19], off offset:1920
	s_waitcnt vmcnt(0)
	v_perm_b32 v9, v1, v9, s39
.LBB45_32:                              ;   in Loop: Header=BB45_14 Depth=1
	s_or_b64 exec, exec, s[30:31]
	s_mov_b64 s[36:37], 0
	ds_write_b16 v38, v2
	ds_write_b16_d16_hi v39, v2 offset:128
	ds_write_b16 v40, v3 offset:256
	ds_write_b16_d16_hi v41, v3 offset:384
	ds_write_b16 v42, v4 offset:512
	;; [unrolled: 2-line block ×7, first 2 shown]
	ds_write_b16_d16_hi v53, v9 offset:1920
	; wave barrier
.LBB45_33:                              ;   in Loop: Header=BB45_14 Depth=1
	s_and_b64 vcc, exec, s[36:37]
	s_cbranch_vccz .LBB45_35
; %bb.34:                               ;   in Loop: Header=BB45_14 Depth=1
	v_lshl_add_u64 v[2:3], v[14:15], 0, v[10:11]
	global_load_ushort v1, v[2:3], off
	global_load_ushort v4, v[2:3], off offset:128
	global_load_ushort v5, v[2:3], off offset:256
	;; [unrolled: 1-line block ×7, first 2 shown]
	s_waitcnt lgkmcnt(0)
	global_load_ushort v19, v[2:3], off offset:1024
	global_load_ushort v57, v[2:3], off offset:1152
	;; [unrolled: 1-line block ×7, first 2 shown]
	s_nop 0
	global_load_ushort v2, v[2:3], off offset:1920
	s_waitcnt vmcnt(15)
	ds_write_b16 v38, v1
	s_waitcnt vmcnt(14)
	ds_write_b16 v39, v4 offset:128
	s_waitcnt vmcnt(13)
	ds_write_b16 v40, v5 offset:256
	;; [unrolled: 2-line block ×15, first 2 shown]
	; wave barrier
.LBB45_35:                              ;   in Loop: Header=BB45_14 Depth=1
	ds_read2_b32 v[8:9], v54 offset1:1
	ds_read2_b32 v[6:7], v54 offset0:2 offset1:3
	ds_read2_b32 v[4:5], v54 offset0:4 offset1:5
	;; [unrolled: 1-line block ×3, first 2 shown]
	s_waitcnt lgkmcnt(0)
	v_add_u16_sdwa v1, v8, v8 dst_sel:DWORD dst_unused:UNUSED_PAD src0_sel:WORD_1 src1_sel:DWORD
	v_add_u16_e32 v1, v1, v9
	v_add_u16_sdwa v1, v1, v9 dst_sel:DWORD dst_unused:UNUSED_PAD src0_sel:DWORD src1_sel:WORD_1
	v_add_u16_e32 v1, v1, v6
	v_add_u16_sdwa v1, v1, v6 dst_sel:DWORD dst_unused:UNUSED_PAD src0_sel:DWORD src1_sel:WORD_1
	;; [unrolled: 2-line block ×7, first 2 shown]
	s_barrier
	s_nop 0
	v_mov_b32_dpp v18, v1 row_shr:1 row_mask:0xf bank_mask:0xf
	v_cndmask_b32_e64 v18, v18, 0, s[6:7]
	v_add_u16_e32 v1, v1, v18
	s_nop 1
	v_mov_b32_dpp v18, v1 row_shr:2 row_mask:0xf bank_mask:0xf
	v_cndmask_b32_e64 v18, 0, v18, s[8:9]
	v_add_u16_e32 v1, v1, v18
	;; [unrolled: 4-line block ×4, first 2 shown]
	s_nop 1
	v_mov_b32_dpp v18, v1 row_bcast:15 row_mask:0xf bank_mask:0xf
	v_cndmask_b32_e64 v18, v18, 0, s[14:15]
	v_add_u16_e32 v1, v1, v18
	s_nop 1
	v_mov_b32_dpp v18, v1 row_bcast:31 row_mask:0xf bank_mask:0xf
	v_cndmask_b32_e64 v18, 0, v18, s[16:17]
	v_add_u16_e32 v1, v1, v18
	s_and_saveexec_b64 s[30:31], s[18:19]
; %bb.36:                               ;   in Loop: Header=BB45_14 Depth=1
	ds_write_b16 v55, v1
; %bb.37:                               ;   in Loop: Header=BB45_14 Depth=1
	s_or_b64 exec, exec, s[30:31]
	s_waitcnt lgkmcnt(0)
	s_barrier
	s_and_saveexec_b64 s[30:31], s[20:21]
	s_cbranch_execz .LBB45_39
; %bb.38:                               ;   in Loop: Header=BB45_14 Depth=1
	ds_read_u16 v18, v20
	s_waitcnt lgkmcnt(0)
	v_and_b32_e32 v19, 0xffff, v18
	s_nop 1
	v_mov_b32_dpp v19, v19 row_shr:1 row_mask:0xf bank_mask:0xf
	v_cndmask_b32_e64 v19, v19, 0, s[22:23]
	v_add_u16_e32 v18, v19, v18
	s_nop 1
	v_mov_b32_dpp v19, v18 row_shr:2 row_mask:0xf bank_mask:0xf
	v_cndmask_b32_e64 v19, 0, v19, s[24:25]
	v_add_u16_e32 v18, v18, v19
	;; [unrolled: 4-line block ×3, first 2 shown]
	ds_write_b16 v20, v18
.LBB45_39:                              ;   in Loop: Header=BB45_14 Depth=1
	s_or_b64 exec, exec, s[30:31]
	s_waitcnt lgkmcnt(0)
	s_barrier
                                        ; implicit-def: $vgpr18
	s_and_saveexec_b64 s[30:31], s[34:35]
	s_cbranch_execz .LBB45_41
; %bb.40:                               ;   in Loop: Header=BB45_14 Depth=1
	v_add_u32_e32 v18, -2, v55
	ds_read_u16 v18, v18
	s_waitcnt lgkmcnt(0)
	v_add_u16_e32 v1, v18, v1
.LBB45_41:                              ;   in Loop: Header=BB45_14 Depth=1
	s_or_b64 exec, exec, s[30:31]
	v_and_b32_e32 v1, 0xffff, v1
	ds_bpermute_b32 v1, v56, v1
	s_and_saveexec_b64 s[30:31], s[4:5]
	s_cbranch_execz .LBB45_45
; %bb.42:                               ;   in Loop: Header=BB45_14 Depth=1
	ds_read_u16 v19, v0 offset:14
	s_and_saveexec_b64 s[36:37], s[28:29]
; %bb.43:                               ;   in Loop: Header=BB45_14 Depth=1
	ds_write_b16 v0, v21 offset:14
; %bb.44:                               ;   in Loop: Header=BB45_14 Depth=1
	s_or_b64 exec, exec, s[36:37]
	s_waitcnt lgkmcnt(0)
	v_add_u16_e32 v21, v19, v21
.LBB45_45:                              ;   in Loop: Header=BB45_14 Depth=1
	s_or_b64 exec, exec, s[30:31]
	s_waitcnt lgkmcnt(0)
	s_barrier
	ds_read_u16 v19, v0 offset:14
	v_cndmask_b32_e64 v1, v1, v18, s[0:1]
	v_cndmask_b32_e64 v1, v1, 0, s[28:29]
	v_add_u16_e32 v1, v1, v8
	v_mov_b64_e32 v[58:59], 0x2000
	s_waitcnt lgkmcnt(0)
	v_add_u16_e32 v18, v1, v19
	v_add_u16_sdwa v8, v18, v8 dst_sel:DWORD dst_unused:UNUSED_PAD src0_sel:DWORD src1_sel:WORD_1
	v_add_u16_e32 v1, v8, v9
	v_add_u16_sdwa v9, v1, v9 dst_sel:DWORD dst_unused:UNUSED_PAD src0_sel:DWORD src1_sel:WORD_1
	;; [unrolled: 2-line block ×4, first 2 shown]
	v_cmp_lt_i64_e32 vcc, s[44:45], v[58:59]
	v_add_u16_e32 v58, v7, v4
	v_add_u16_sdwa v59, v58, v4 dst_sel:DWORD dst_unused:UNUSED_PAD src0_sel:DWORD src1_sel:WORD_1
	v_add_u16_e32 v60, v59, v5
	v_add_u16_sdwa v61, v60, v5 dst_sel:DWORD dst_unused:UNUSED_PAD src0_sel:DWORD src1_sel:WORD_1
	;; [unrolled: 2-line block ×4, first 2 shown]
	s_and_b64 vcc, exec, vcc
	v_perm_b32 v1, v9, v1, s39
	v_perm_b32 v4, v8, v18, s39
	;; [unrolled: 1-line block ×8, first 2 shown]
	v_lshl_add_u64 v[2:3], v[12:13], 0, v[10:11]
	s_barrier
	s_cbranch_vccz .LBB45_68
; %bb.46:                               ;   in Loop: Header=BB45_14 Depth=1
	ds_write2_b32 v54, v4, v1 offset1:1
	ds_write2_b32 v54, v6, v5 offset0:2 offset1:3
	ds_write2_b32 v54, v8, v7 offset0:4 offset1:5
	;; [unrolled: 1-line block ×3, first 2 shown]
	; wave barrier
	ds_read_u16 v71, v38
	ds_read_u16 v70, v39 offset:128
	ds_read_u16 v69, v40 offset:256
	ds_read_u16 v68, v41 offset:384
	ds_read_u16 v67, v42 offset:512
	ds_read_u16 v66, v43 offset:640
	ds_read_u16 v65, v44 offset:768
	ds_read_u16 v64, v45 offset:896
	ds_read_u16 v63, v46 offset:1024
	ds_read_u16 v62, v47 offset:1152
	ds_read_u16 v61, v48 offset:1280
	ds_read_u16 v60, v49 offset:1408
	ds_read_u16 v59, v50 offset:1536
	ds_read_u16 v58, v51 offset:1664
	ds_read_u16 v57, v52 offset:1792
	ds_read_u16 v19, v53 offset:1920
	v_cmp_gt_u32_e32 vcc, s38, v22
	s_and_saveexec_b64 s[30:31], vcc
	s_cbranch_execnz .LBB45_69
; %bb.47:                               ;   in Loop: Header=BB45_14 Depth=1
	s_or_b64 exec, exec, s[30:31]
	v_cmp_gt_u32_e32 vcc, s38, v23
	s_and_saveexec_b64 s[30:31], vcc
	s_cbranch_execnz .LBB45_70
.LBB45_48:                              ;   in Loop: Header=BB45_14 Depth=1
	s_or_b64 exec, exec, s[30:31]
	v_cmp_gt_u32_e32 vcc, s38, v24
	s_and_saveexec_b64 s[30:31], vcc
	s_cbranch_execnz .LBB45_71
.LBB45_49:                              ;   in Loop: Header=BB45_14 Depth=1
	s_or_b64 exec, exec, s[30:31]
	v_cmp_gt_u32_e32 vcc, s38, v25
	s_and_saveexec_b64 s[30:31], vcc
	s_cbranch_execnz .LBB45_72
.LBB45_50:                              ;   in Loop: Header=BB45_14 Depth=1
	s_or_b64 exec, exec, s[30:31]
	v_cmp_gt_u32_e32 vcc, s38, v26
	s_and_saveexec_b64 s[30:31], vcc
	s_cbranch_execnz .LBB45_73
.LBB45_51:                              ;   in Loop: Header=BB45_14 Depth=1
	s_or_b64 exec, exec, s[30:31]
	v_cmp_gt_u32_e32 vcc, s38, v27
	s_and_saveexec_b64 s[30:31], vcc
	s_cbranch_execnz .LBB45_74
.LBB45_52:                              ;   in Loop: Header=BB45_14 Depth=1
	s_or_b64 exec, exec, s[30:31]
	v_cmp_gt_u32_e32 vcc, s38, v28
	s_and_saveexec_b64 s[30:31], vcc
	s_cbranch_execnz .LBB45_75
.LBB45_53:                              ;   in Loop: Header=BB45_14 Depth=1
	s_or_b64 exec, exec, s[30:31]
	v_cmp_gt_u32_e32 vcc, s38, v29
	s_and_saveexec_b64 s[30:31], vcc
	s_cbranch_execnz .LBB45_76
.LBB45_54:                              ;   in Loop: Header=BB45_14 Depth=1
	s_or_b64 exec, exec, s[30:31]
	v_cmp_gt_u32_e32 vcc, s38, v30
	s_and_saveexec_b64 s[30:31], vcc
	s_cbranch_execnz .LBB45_77
.LBB45_55:                              ;   in Loop: Header=BB45_14 Depth=1
	s_or_b64 exec, exec, s[30:31]
	v_cmp_gt_u32_e32 vcc, s38, v31
	s_and_saveexec_b64 s[30:31], vcc
	s_cbranch_execnz .LBB45_78
.LBB45_56:                              ;   in Loop: Header=BB45_14 Depth=1
	s_or_b64 exec, exec, s[30:31]
	v_cmp_gt_u32_e32 vcc, s38, v32
	s_and_saveexec_b64 s[30:31], vcc
	s_cbranch_execnz .LBB45_79
.LBB45_57:                              ;   in Loop: Header=BB45_14 Depth=1
	s_or_b64 exec, exec, s[30:31]
	v_cmp_gt_u32_e32 vcc, s38, v33
	s_and_saveexec_b64 s[30:31], vcc
	s_cbranch_execnz .LBB45_80
.LBB45_58:                              ;   in Loop: Header=BB45_14 Depth=1
	s_or_b64 exec, exec, s[30:31]
	v_cmp_gt_u32_e32 vcc, s38, v34
	s_and_saveexec_b64 s[30:31], vcc
	s_cbranch_execnz .LBB45_81
.LBB45_59:                              ;   in Loop: Header=BB45_14 Depth=1
	s_or_b64 exec, exec, s[30:31]
	v_cmp_gt_u32_e32 vcc, s38, v35
	s_and_saveexec_b64 s[30:31], vcc
	s_cbranch_execnz .LBB45_82
.LBB45_60:                              ;   in Loop: Header=BB45_14 Depth=1
	s_or_b64 exec, exec, s[30:31]
	v_cmp_gt_u32_e32 vcc, s38, v36
	s_and_saveexec_b64 s[30:31], vcc
	s_cbranch_execz .LBB45_62
.LBB45_61:                              ;   in Loop: Header=BB45_14 Depth=1
	s_waitcnt lgkmcnt(1)
	global_store_short v[2:3], v57, off offset:-128
.LBB45_62:                              ;   in Loop: Header=BB45_14 Depth=1
	s_or_b64 exec, exec, s[30:31]
	v_cmp_gt_u32_e64 s[30:31], s38, v37
	s_branch .LBB45_64
.LBB45_63:                              ;   in Loop: Header=BB45_14 Depth=1
	ds_write2_b32 v54, v4, v1 offset1:1
	ds_write2_b32 v54, v6, v5 offset0:2 offset1:3
	ds_write2_b32 v54, v8, v7 offset0:4 offset1:5
	;; [unrolled: 1-line block ×3, first 2 shown]
	; wave barrier
	ds_read_u16 v1, v38
	ds_read_u16 v4, v39 offset:128
	ds_read_u16 v5, v40 offset:256
	;; [unrolled: 1-line block ×7, first 2 shown]
	s_waitcnt lgkmcnt(13)
	ds_read_u16 v57, v46 offset:1024
	ds_read_u16 v58, v47 offset:1152
	;; [unrolled: 1-line block ×7, first 2 shown]
	s_waitcnt lgkmcnt(14)
	ds_read_u16 v19, v53 offset:1920
	s_or_b64 s[30:31], s[30:31], exec
	global_store_short v[2:3], v1, off offset:-1920
	s_waitcnt lgkmcnt(14)
	global_store_short v[2:3], v4, off offset:-1792
	s_waitcnt lgkmcnt(13)
	;; [unrolled: 2-line block ×14, first 2 shown]
	global_store_short v[2:3], v63, off offset:-128
.LBB45_64:                              ;   in Loop: Header=BB45_14 Depth=1
	s_and_saveexec_b64 s[36:37], s[30:31]
	s_cbranch_execz .LBB45_66
; %bb.65:                               ;   in Loop: Header=BB45_14 Depth=1
	s_waitcnt lgkmcnt(0)
	global_store_short v[2:3], v19, off
.LBB45_66:                              ;   in Loop: Header=BB45_14 Depth=1
	s_or_b64 exec, exec, s[36:37]
	v_cmp_lt_i64_e32 vcc, s[44:45], v[16:17]
	s_mov_b64 s[30:31], -1
	s_cbranch_vccnz .LBB45_13
; %bb.67:                               ;   in Loop: Header=BB45_14 Depth=1
	s_add_u32 s44, s44, 0xffffe000
	s_addc_u32 s45, s45, -1
	s_add_i32 s33, s33, -1
	s_addk_i32 s38, 0xe000
	s_cmp_eq_u32 s33, 0
	v_lshl_add_u64 v[12:13], v[12:13], 0, s[2:3]
	v_lshl_add_u64 v[14:15], v[14:15], 0, s[2:3]
	s_cselect_b64 s[30:31], -1, 0
	s_waitcnt lgkmcnt(0)
	s_barrier
	s_branch .LBB45_13
.LBB45_68:                              ;   in Loop: Header=BB45_14 Depth=1
	s_mov_b64 s[30:31], 0
                                        ; implicit-def: $vgpr19
	s_cbranch_execnz .LBB45_63
	s_branch .LBB45_64
.LBB45_69:                              ;   in Loop: Header=BB45_14 Depth=1
	s_waitcnt lgkmcnt(14)
	global_store_short v[2:3], v71, off offset:-1920
	s_or_b64 exec, exec, s[30:31]
	v_cmp_gt_u32_e32 vcc, s38, v23
	s_and_saveexec_b64 s[30:31], vcc
	s_cbranch_execz .LBB45_48
.LBB45_70:                              ;   in Loop: Header=BB45_14 Depth=1
	s_waitcnt lgkmcnt(14)
	global_store_short v[2:3], v70, off offset:-1792
	s_or_b64 exec, exec, s[30:31]
	v_cmp_gt_u32_e32 vcc, s38, v24
	s_and_saveexec_b64 s[30:31], vcc
	s_cbranch_execz .LBB45_49
.LBB45_71:                              ;   in Loop: Header=BB45_14 Depth=1
	s_waitcnt lgkmcnt(13)
	global_store_short v[2:3], v69, off offset:-1664
	s_or_b64 exec, exec, s[30:31]
	v_cmp_gt_u32_e32 vcc, s38, v25
	s_and_saveexec_b64 s[30:31], vcc
	s_cbranch_execz .LBB45_50
.LBB45_72:                              ;   in Loop: Header=BB45_14 Depth=1
	s_waitcnt lgkmcnt(12)
	global_store_short v[2:3], v68, off offset:-1536
	s_or_b64 exec, exec, s[30:31]
	v_cmp_gt_u32_e32 vcc, s38, v26
	s_and_saveexec_b64 s[30:31], vcc
	s_cbranch_execz .LBB45_51
.LBB45_73:                              ;   in Loop: Header=BB45_14 Depth=1
	s_waitcnt lgkmcnt(11)
	global_store_short v[2:3], v67, off offset:-1408
	s_or_b64 exec, exec, s[30:31]
	v_cmp_gt_u32_e32 vcc, s38, v27
	s_and_saveexec_b64 s[30:31], vcc
	s_cbranch_execz .LBB45_52
.LBB45_74:                              ;   in Loop: Header=BB45_14 Depth=1
	s_waitcnt lgkmcnt(10)
	global_store_short v[2:3], v66, off offset:-1280
	s_or_b64 exec, exec, s[30:31]
	v_cmp_gt_u32_e32 vcc, s38, v28
	s_and_saveexec_b64 s[30:31], vcc
	s_cbranch_execz .LBB45_53
.LBB45_75:                              ;   in Loop: Header=BB45_14 Depth=1
	s_waitcnt lgkmcnt(9)
	global_store_short v[2:3], v65, off offset:-1152
	s_or_b64 exec, exec, s[30:31]
	v_cmp_gt_u32_e32 vcc, s38, v29
	s_and_saveexec_b64 s[30:31], vcc
	s_cbranch_execz .LBB45_54
.LBB45_76:                              ;   in Loop: Header=BB45_14 Depth=1
	s_waitcnt lgkmcnt(8)
	global_store_short v[2:3], v64, off offset:-1024
	s_or_b64 exec, exec, s[30:31]
	v_cmp_gt_u32_e32 vcc, s38, v30
	s_and_saveexec_b64 s[30:31], vcc
	s_cbranch_execz .LBB45_55
.LBB45_77:                              ;   in Loop: Header=BB45_14 Depth=1
	s_waitcnt lgkmcnt(7)
	global_store_short v[2:3], v63, off offset:-896
	s_or_b64 exec, exec, s[30:31]
	v_cmp_gt_u32_e32 vcc, s38, v31
	s_and_saveexec_b64 s[30:31], vcc
	s_cbranch_execz .LBB45_56
.LBB45_78:                              ;   in Loop: Header=BB45_14 Depth=1
	s_waitcnt lgkmcnt(6)
	global_store_short v[2:3], v62, off offset:-768
	s_or_b64 exec, exec, s[30:31]
	v_cmp_gt_u32_e32 vcc, s38, v32
	s_and_saveexec_b64 s[30:31], vcc
	s_cbranch_execz .LBB45_57
.LBB45_79:                              ;   in Loop: Header=BB45_14 Depth=1
	s_waitcnt lgkmcnt(5)
	global_store_short v[2:3], v61, off offset:-640
	s_or_b64 exec, exec, s[30:31]
	v_cmp_gt_u32_e32 vcc, s38, v33
	s_and_saveexec_b64 s[30:31], vcc
	s_cbranch_execz .LBB45_58
.LBB45_80:                              ;   in Loop: Header=BB45_14 Depth=1
	s_waitcnt lgkmcnt(4)
	global_store_short v[2:3], v60, off offset:-512
	s_or_b64 exec, exec, s[30:31]
	v_cmp_gt_u32_e32 vcc, s38, v34
	s_and_saveexec_b64 s[30:31], vcc
	s_cbranch_execz .LBB45_59
.LBB45_81:                              ;   in Loop: Header=BB45_14 Depth=1
	s_waitcnt lgkmcnt(3)
	global_store_short v[2:3], v59, off offset:-384
	s_or_b64 exec, exec, s[30:31]
	v_cmp_gt_u32_e32 vcc, s38, v35
	s_and_saveexec_b64 s[30:31], vcc
	s_cbranch_execz .LBB45_60
.LBB45_82:                              ;   in Loop: Header=BB45_14 Depth=1
	s_waitcnt lgkmcnt(2)
	global_store_short v[2:3], v58, off offset:-256
	s_or_b64 exec, exec, s[30:31]
	v_cmp_gt_u32_e32 vcc, s38, v36
	s_and_saveexec_b64 s[30:31], vcc
	s_cbranch_execnz .LBB45_61
	s_branch .LBB45_62
.LBB45_83:                              ;   in Loop: Header=BB45_14 Depth=1
	global_load_ushort v1, v[18:19], off
	v_mov_b32_e32 v3, v0
	v_mov_b32_e32 v4, v0
	;; [unrolled: 1-line block ×7, first 2 shown]
	s_waitcnt vmcnt(0)
	v_and_b32_e32 v2, 0xffff, v1
	s_or_b64 exec, exec, s[36:37]
	v_cmp_gt_u32_e32 vcc, s38, v23
	s_and_saveexec_b64 s[30:31], vcc
	s_cbranch_execz .LBB45_17
.LBB45_84:                              ;   in Loop: Header=BB45_14 Depth=1
	global_load_ushort v1, v[18:19], off offset:128
	s_waitcnt vmcnt(0)
	v_perm_b32 v2, v1, v2, s39
	s_or_b64 exec, exec, s[30:31]
	v_cmp_gt_u32_e32 vcc, s38, v24
	s_and_saveexec_b64 s[30:31], vcc
	s_cbranch_execz .LBB45_18
.LBB45_85:                              ;   in Loop: Header=BB45_14 Depth=1
	global_load_ushort v1, v[18:19], off offset:256
	s_waitcnt vmcnt(0)
	v_bfi_b32 v3, s40, v1, v3
	s_or_b64 exec, exec, s[30:31]
	v_cmp_gt_u32_e32 vcc, s38, v25
	s_and_saveexec_b64 s[30:31], vcc
	s_cbranch_execz .LBB45_19
.LBB45_86:                              ;   in Loop: Header=BB45_14 Depth=1
	global_load_ushort v1, v[18:19], off offset:384
	s_waitcnt vmcnt(0)
	v_perm_b32 v3, v1, v3, s39
	s_or_b64 exec, exec, s[30:31]
	v_cmp_gt_u32_e32 vcc, s38, v26
	s_and_saveexec_b64 s[30:31], vcc
	s_cbranch_execz .LBB45_20
.LBB45_87:                              ;   in Loop: Header=BB45_14 Depth=1
	global_load_ushort v1, v[18:19], off offset:512
	s_waitcnt vmcnt(0)
	v_bfi_b32 v4, s40, v1, v4
	s_or_b64 exec, exec, s[30:31]
	v_cmp_gt_u32_e32 vcc, s38, v27
	s_and_saveexec_b64 s[30:31], vcc
	s_cbranch_execz .LBB45_21
.LBB45_88:                              ;   in Loop: Header=BB45_14 Depth=1
	global_load_ushort v1, v[18:19], off offset:640
	s_waitcnt vmcnt(0)
	v_perm_b32 v4, v1, v4, s39
	s_or_b64 exec, exec, s[30:31]
	v_cmp_gt_u32_e32 vcc, s38, v28
	s_and_saveexec_b64 s[30:31], vcc
	s_cbranch_execz .LBB45_22
.LBB45_89:                              ;   in Loop: Header=BB45_14 Depth=1
	global_load_ushort v1, v[18:19], off offset:768
	s_waitcnt vmcnt(0)
	v_bfi_b32 v5, s40, v1, v5
	s_or_b64 exec, exec, s[30:31]
	v_cmp_gt_u32_e32 vcc, s38, v29
	s_and_saveexec_b64 s[30:31], vcc
	s_cbranch_execz .LBB45_23
.LBB45_90:                              ;   in Loop: Header=BB45_14 Depth=1
	global_load_ushort v1, v[18:19], off offset:896
	s_waitcnt vmcnt(0)
	v_perm_b32 v5, v1, v5, s39
	s_or_b64 exec, exec, s[30:31]
	v_cmp_gt_u32_e32 vcc, s38, v30
	s_and_saveexec_b64 s[30:31], vcc
	s_cbranch_execz .LBB45_24
.LBB45_91:                              ;   in Loop: Header=BB45_14 Depth=1
	global_load_ushort v1, v[18:19], off offset:1024
	s_waitcnt vmcnt(0)
	v_bfi_b32 v6, s40, v1, v6
	s_or_b64 exec, exec, s[30:31]
	v_cmp_gt_u32_e32 vcc, s38, v31
	s_and_saveexec_b64 s[30:31], vcc
	s_cbranch_execz .LBB45_25
.LBB45_92:                              ;   in Loop: Header=BB45_14 Depth=1
	global_load_ushort v1, v[18:19], off offset:1152
	s_waitcnt vmcnt(0)
	v_perm_b32 v6, v1, v6, s39
	s_or_b64 exec, exec, s[30:31]
	v_cmp_gt_u32_e32 vcc, s38, v32
	s_and_saveexec_b64 s[30:31], vcc
	s_cbranch_execz .LBB45_26
.LBB45_93:                              ;   in Loop: Header=BB45_14 Depth=1
	global_load_ushort v1, v[18:19], off offset:1280
	s_waitcnt vmcnt(0)
	v_bfi_b32 v7, s40, v1, v7
	s_or_b64 exec, exec, s[30:31]
	v_cmp_gt_u32_e32 vcc, s38, v33
	s_and_saveexec_b64 s[30:31], vcc
	s_cbranch_execz .LBB45_27
.LBB45_94:                              ;   in Loop: Header=BB45_14 Depth=1
	global_load_ushort v1, v[18:19], off offset:1408
	s_waitcnt vmcnt(0)
	v_perm_b32 v7, v1, v7, s39
	s_or_b64 exec, exec, s[30:31]
	v_cmp_gt_u32_e32 vcc, s38, v34
	s_and_saveexec_b64 s[30:31], vcc
	s_cbranch_execz .LBB45_28
.LBB45_95:                              ;   in Loop: Header=BB45_14 Depth=1
	global_load_ushort v1, v[18:19], off offset:1536
	s_waitcnt vmcnt(0)
	v_bfi_b32 v8, s40, v1, v8
	s_or_b64 exec, exec, s[30:31]
	v_cmp_gt_u32_e32 vcc, s38, v35
	s_and_saveexec_b64 s[30:31], vcc
	s_cbranch_execz .LBB45_29
.LBB45_96:                              ;   in Loop: Header=BB45_14 Depth=1
	global_load_ushort v1, v[18:19], off offset:1664
	s_waitcnt vmcnt(0)
	v_perm_b32 v8, v1, v8, s39
	s_or_b64 exec, exec, s[30:31]
	v_cmp_gt_u32_e32 vcc, s38, v36
	s_and_saveexec_b64 s[30:31], vcc
	s_cbranch_execz .LBB45_30
.LBB45_97:                              ;   in Loop: Header=BB45_14 Depth=1
	global_load_ushort v1, v[18:19], off offset:1792
	s_waitcnt vmcnt(0)
	v_bfi_b32 v9, s40, v1, v9
	s_or_b64 exec, exec, s[30:31]
	v_cmp_gt_u32_e32 vcc, s38, v37
	s_and_saveexec_b64 s[30:31], vcc
	s_cbranch_execnz .LBB45_31
	s_branch .LBB45_32
.LBB45_98:
	s_endpgm
	.section	.rodata,"a",@progbits
	.p2align	6, 0x0
	.amdhsa_kernel _ZN2at4cuda3cub17final_scan_kernelILi512ELi16EsEEvPKT1_PS3_S6_li
		.amdhsa_group_segment_fixed_size 16896
		.amdhsa_private_segment_fixed_size 0
		.amdhsa_kernarg_size 296
		.amdhsa_user_sgpr_count 2
		.amdhsa_user_sgpr_dispatch_ptr 0
		.amdhsa_user_sgpr_queue_ptr 0
		.amdhsa_user_sgpr_kernarg_segment_ptr 1
		.amdhsa_user_sgpr_dispatch_id 0
		.amdhsa_user_sgpr_kernarg_preload_length 0
		.amdhsa_user_sgpr_kernarg_preload_offset 0
		.amdhsa_user_sgpr_private_segment_size 0
		.amdhsa_uses_dynamic_stack 0
		.amdhsa_enable_private_segment 0
		.amdhsa_system_sgpr_workgroup_id_x 1
		.amdhsa_system_sgpr_workgroup_id_y 0
		.amdhsa_system_sgpr_workgroup_id_z 0
		.amdhsa_system_sgpr_workgroup_info 0
		.amdhsa_system_vgpr_workitem_id 0
		.amdhsa_next_free_vgpr 72
		.amdhsa_next_free_sgpr 46
		.amdhsa_accum_offset 72
		.amdhsa_reserve_vcc 1
		.amdhsa_float_round_mode_32 0
		.amdhsa_float_round_mode_16_64 0
		.amdhsa_float_denorm_mode_32 3
		.amdhsa_float_denorm_mode_16_64 3
		.amdhsa_dx10_clamp 1
		.amdhsa_ieee_mode 1
		.amdhsa_fp16_overflow 0
		.amdhsa_tg_split 0
		.amdhsa_exception_fp_ieee_invalid_op 0
		.amdhsa_exception_fp_denorm_src 0
		.amdhsa_exception_fp_ieee_div_zero 0
		.amdhsa_exception_fp_ieee_overflow 0
		.amdhsa_exception_fp_ieee_underflow 0
		.amdhsa_exception_fp_ieee_inexact 0
		.amdhsa_exception_int_div_zero 0
	.end_amdhsa_kernel
	.section	.text._ZN2at4cuda3cub17final_scan_kernelILi512ELi16EsEEvPKT1_PS3_S6_li,"axG",@progbits,_ZN2at4cuda3cub17final_scan_kernelILi512ELi16EsEEvPKT1_PS3_S6_li,comdat
.Lfunc_end45:
	.size	_ZN2at4cuda3cub17final_scan_kernelILi512ELi16EsEEvPKT1_PS3_S6_li, .Lfunc_end45-_ZN2at4cuda3cub17final_scan_kernelILi512ELi16EsEEvPKT1_PS3_S6_li
                                        ; -- End function
	.set _ZN2at4cuda3cub17final_scan_kernelILi512ELi16EsEEvPKT1_PS3_S6_li.num_vgpr, 72
	.set _ZN2at4cuda3cub17final_scan_kernelILi512ELi16EsEEvPKT1_PS3_S6_li.num_agpr, 0
	.set _ZN2at4cuda3cub17final_scan_kernelILi512ELi16EsEEvPKT1_PS3_S6_li.numbered_sgpr, 46
	.set _ZN2at4cuda3cub17final_scan_kernelILi512ELi16EsEEvPKT1_PS3_S6_li.num_named_barrier, 0
	.set _ZN2at4cuda3cub17final_scan_kernelILi512ELi16EsEEvPKT1_PS3_S6_li.private_seg_size, 0
	.set _ZN2at4cuda3cub17final_scan_kernelILi512ELi16EsEEvPKT1_PS3_S6_li.uses_vcc, 1
	.set _ZN2at4cuda3cub17final_scan_kernelILi512ELi16EsEEvPKT1_PS3_S6_li.uses_flat_scratch, 0
	.set _ZN2at4cuda3cub17final_scan_kernelILi512ELi16EsEEvPKT1_PS3_S6_li.has_dyn_sized_stack, 0
	.set _ZN2at4cuda3cub17final_scan_kernelILi512ELi16EsEEvPKT1_PS3_S6_li.has_recursion, 0
	.set _ZN2at4cuda3cub17final_scan_kernelILi512ELi16EsEEvPKT1_PS3_S6_li.has_indirect_call, 0
	.section	.AMDGPU.csdata,"",@progbits
; Kernel info:
; codeLenInByte = 4648
; TotalNumSgprs: 52
; NumVgprs: 72
; NumAgprs: 0
; TotalNumVgprs: 72
; ScratchSize: 0
; MemoryBound: 0
; FloatMode: 240
; IeeeMode: 1
; LDSByteSize: 16896 bytes/workgroup (compile time only)
; SGPRBlocks: 6
; VGPRBlocks: 8
; NumSGPRsForWavesPerEU: 52
; NumVGPRsForWavesPerEU: 72
; AccumOffset: 72
; Occupancy: 7
; WaveLimiterHint : 1
; COMPUTE_PGM_RSRC2:SCRATCH_EN: 0
; COMPUTE_PGM_RSRC2:USER_SGPR: 2
; COMPUTE_PGM_RSRC2:TRAP_HANDLER: 0
; COMPUTE_PGM_RSRC2:TGID_X_EN: 1
; COMPUTE_PGM_RSRC2:TGID_Y_EN: 0
; COMPUTE_PGM_RSRC2:TGID_Z_EN: 0
; COMPUTE_PGM_RSRC2:TIDIG_COMP_CNT: 0
; COMPUTE_PGM_RSRC3_GFX90A:ACCUM_OFFSET: 17
; COMPUTE_PGM_RSRC3_GFX90A:TG_SPLIT: 0
	.section	.text._ZN7rocprim17ROCPRIM_304000_NS6detail31init_lookback_scan_state_kernelINS1_19lookback_scan_stateIsLb1ELb1EEEEEvT_jjPNS5_10value_typeE,"axG",@progbits,_ZN7rocprim17ROCPRIM_304000_NS6detail31init_lookback_scan_state_kernelINS1_19lookback_scan_stateIsLb1ELb1EEEEEvT_jjPNS5_10value_typeE,comdat
	.protected	_ZN7rocprim17ROCPRIM_304000_NS6detail31init_lookback_scan_state_kernelINS1_19lookback_scan_stateIsLb1ELb1EEEEEvT_jjPNS5_10value_typeE ; -- Begin function _ZN7rocprim17ROCPRIM_304000_NS6detail31init_lookback_scan_state_kernelINS1_19lookback_scan_stateIsLb1ELb1EEEEEvT_jjPNS5_10value_typeE
	.globl	_ZN7rocprim17ROCPRIM_304000_NS6detail31init_lookback_scan_state_kernelINS1_19lookback_scan_stateIsLb1ELb1EEEEEvT_jjPNS5_10value_typeE
	.p2align	8
	.type	_ZN7rocprim17ROCPRIM_304000_NS6detail31init_lookback_scan_state_kernelINS1_19lookback_scan_stateIsLb1ELb1EEEEEvT_jjPNS5_10value_typeE,@function
_ZN7rocprim17ROCPRIM_304000_NS6detail31init_lookback_scan_state_kernelINS1_19lookback_scan_stateIsLb1ELb1EEEEEvT_jjPNS5_10value_typeE: ; @_ZN7rocprim17ROCPRIM_304000_NS6detail31init_lookback_scan_state_kernelINS1_19lookback_scan_stateIsLb1ELb1EEEEEvT_jjPNS5_10value_typeE
; %bb.0:
	s_load_dword s3, s[0:1], 0x24
	s_load_dwordx2 s[8:9], s[0:1], 0x10
	s_load_dwordx4 s[4:7], s[0:1], 0x0
	s_waitcnt lgkmcnt(0)
	s_and_b32 s0, s3, 0xffff
	s_mul_i32 s2, s2, s0
	s_cmp_eq_u64 s[8:9], 0
	v_add_u32_e32 v0, s2, v0
	s_cbranch_scc1 .LBB46_9
; %bb.1:
	s_cmp_lt_u32 s7, s6
	s_cselect_b32 s0, s7, 0
	s_mov_b32 s3, 0
	v_cmp_eq_u32_e32 vcc, s0, v0
	s_and_saveexec_b64 s[0:1], vcc
	s_cbranch_execz .LBB46_8
; %bb.2:
	s_add_i32 s2, s7, 64
	s_lshl_b64 s[2:3], s[2:3], 2
	s_add_u32 s2, s4, s2
	s_addc_u32 s3, s5, s3
	v_mov_b32_e32 v1, 0
	global_load_dword v2, v1, s[2:3] sc1
	s_waitcnt vmcnt(0)
	v_and_b32_e32 v3, 0xff0000, v2
	v_cmp_ne_u32_e32 vcc, 0, v3
	s_cbranch_vccnz .LBB46_7
; %bb.3:
	s_mov_b32 s7, 1
.LBB46_4:                               ; =>This Loop Header: Depth=1
                                        ;     Child Loop BB46_5 Depth 2
	s_mov_b32 s10, s7
.LBB46_5:                               ;   Parent Loop BB46_4 Depth=1
                                        ; =>  This Inner Loop Header: Depth=2
	s_add_i32 s10, s10, -1
	s_cmp_eq_u32 s10, 0
	s_sleep 1
	s_cbranch_scc0 .LBB46_5
; %bb.6:                                ;   in Loop: Header=BB46_4 Depth=1
	global_load_dword v2, v1, s[2:3] sc1
	s_cmp_lt_u32 s7, 32
	s_cselect_b64 s[10:11], -1, 0
	s_cmp_lg_u64 s[10:11], 0
	s_addc_u32 s7, s7, 0
	s_waitcnt vmcnt(0)
	v_and_b32_e32 v3, 0xff0000, v2
	v_cmp_ne_u32_e32 vcc, 0, v3
	s_cbranch_vccz .LBB46_4
.LBB46_7:
	v_mov_b32_e32 v1, 0
	global_store_short v1, v2, s[8:9]
.LBB46_8:
	s_or_b64 exec, exec, s[0:1]
.LBB46_9:
	v_cmp_gt_u32_e32 vcc, s6, v0
	s_and_saveexec_b64 s[0:1], vcc
	s_cbranch_execnz .LBB46_12
; %bb.10:
	s_or_b64 exec, exec, s[0:1]
	v_cmp_gt_u32_e32 vcc, 64, v0
	s_and_saveexec_b64 s[0:1], vcc
	s_cbranch_execnz .LBB46_13
.LBB46_11:
	s_endpgm
.LBB46_12:
	v_add_u32_e32 v2, 64, v0
	v_mov_b32_e32 v3, 0
	v_lshl_add_u64 v[4:5], v[2:3], 2, s[4:5]
	global_store_dword v[4:5], v3, off
	s_or_b64 exec, exec, s[0:1]
	v_cmp_gt_u32_e32 vcc, 64, v0
	s_and_saveexec_b64 s[0:1], vcc
	s_cbranch_execz .LBB46_11
.LBB46_13:
	v_mov_b32_e32 v1, 0
	v_lshl_add_u64 v[0:1], v[0:1], 2, s[4:5]
	v_mov_b32_e32 v2, 0xff0000
	global_store_dword v[0:1], v2, off
	s_endpgm
	.section	.rodata,"a",@progbits
	.p2align	6, 0x0
	.amdhsa_kernel _ZN7rocprim17ROCPRIM_304000_NS6detail31init_lookback_scan_state_kernelINS1_19lookback_scan_stateIsLb1ELb1EEEEEvT_jjPNS5_10value_typeE
		.amdhsa_group_segment_fixed_size 0
		.amdhsa_private_segment_fixed_size 0
		.amdhsa_kernarg_size 280
		.amdhsa_user_sgpr_count 2
		.amdhsa_user_sgpr_dispatch_ptr 0
		.amdhsa_user_sgpr_queue_ptr 0
		.amdhsa_user_sgpr_kernarg_segment_ptr 1
		.amdhsa_user_sgpr_dispatch_id 0
		.amdhsa_user_sgpr_kernarg_preload_length 0
		.amdhsa_user_sgpr_kernarg_preload_offset 0
		.amdhsa_user_sgpr_private_segment_size 0
		.amdhsa_uses_dynamic_stack 0
		.amdhsa_enable_private_segment 0
		.amdhsa_system_sgpr_workgroup_id_x 1
		.amdhsa_system_sgpr_workgroup_id_y 0
		.amdhsa_system_sgpr_workgroup_id_z 0
		.amdhsa_system_sgpr_workgroup_info 0
		.amdhsa_system_vgpr_workitem_id 0
		.amdhsa_next_free_vgpr 6
		.amdhsa_next_free_sgpr 12
		.amdhsa_accum_offset 8
		.amdhsa_reserve_vcc 1
		.amdhsa_float_round_mode_32 0
		.amdhsa_float_round_mode_16_64 0
		.amdhsa_float_denorm_mode_32 3
		.amdhsa_float_denorm_mode_16_64 3
		.amdhsa_dx10_clamp 1
		.amdhsa_ieee_mode 1
		.amdhsa_fp16_overflow 0
		.amdhsa_tg_split 0
		.amdhsa_exception_fp_ieee_invalid_op 0
		.amdhsa_exception_fp_denorm_src 0
		.amdhsa_exception_fp_ieee_div_zero 0
		.amdhsa_exception_fp_ieee_overflow 0
		.amdhsa_exception_fp_ieee_underflow 0
		.amdhsa_exception_fp_ieee_inexact 0
		.amdhsa_exception_int_div_zero 0
	.end_amdhsa_kernel
	.section	.text._ZN7rocprim17ROCPRIM_304000_NS6detail31init_lookback_scan_state_kernelINS1_19lookback_scan_stateIsLb1ELb1EEEEEvT_jjPNS5_10value_typeE,"axG",@progbits,_ZN7rocprim17ROCPRIM_304000_NS6detail31init_lookback_scan_state_kernelINS1_19lookback_scan_stateIsLb1ELb1EEEEEvT_jjPNS5_10value_typeE,comdat
.Lfunc_end46:
	.size	_ZN7rocprim17ROCPRIM_304000_NS6detail31init_lookback_scan_state_kernelINS1_19lookback_scan_stateIsLb1ELb1EEEEEvT_jjPNS5_10value_typeE, .Lfunc_end46-_ZN7rocprim17ROCPRIM_304000_NS6detail31init_lookback_scan_state_kernelINS1_19lookback_scan_stateIsLb1ELb1EEEEEvT_jjPNS5_10value_typeE
                                        ; -- End function
	.set _ZN7rocprim17ROCPRIM_304000_NS6detail31init_lookback_scan_state_kernelINS1_19lookback_scan_stateIsLb1ELb1EEEEEvT_jjPNS5_10value_typeE.num_vgpr, 6
	.set _ZN7rocprim17ROCPRIM_304000_NS6detail31init_lookback_scan_state_kernelINS1_19lookback_scan_stateIsLb1ELb1EEEEEvT_jjPNS5_10value_typeE.num_agpr, 0
	.set _ZN7rocprim17ROCPRIM_304000_NS6detail31init_lookback_scan_state_kernelINS1_19lookback_scan_stateIsLb1ELb1EEEEEvT_jjPNS5_10value_typeE.numbered_sgpr, 12
	.set _ZN7rocprim17ROCPRIM_304000_NS6detail31init_lookback_scan_state_kernelINS1_19lookback_scan_stateIsLb1ELb1EEEEEvT_jjPNS5_10value_typeE.num_named_barrier, 0
	.set _ZN7rocprim17ROCPRIM_304000_NS6detail31init_lookback_scan_state_kernelINS1_19lookback_scan_stateIsLb1ELb1EEEEEvT_jjPNS5_10value_typeE.private_seg_size, 0
	.set _ZN7rocprim17ROCPRIM_304000_NS6detail31init_lookback_scan_state_kernelINS1_19lookback_scan_stateIsLb1ELb1EEEEEvT_jjPNS5_10value_typeE.uses_vcc, 1
	.set _ZN7rocprim17ROCPRIM_304000_NS6detail31init_lookback_scan_state_kernelINS1_19lookback_scan_stateIsLb1ELb1EEEEEvT_jjPNS5_10value_typeE.uses_flat_scratch, 0
	.set _ZN7rocprim17ROCPRIM_304000_NS6detail31init_lookback_scan_state_kernelINS1_19lookback_scan_stateIsLb1ELb1EEEEEvT_jjPNS5_10value_typeE.has_dyn_sized_stack, 0
	.set _ZN7rocprim17ROCPRIM_304000_NS6detail31init_lookback_scan_state_kernelINS1_19lookback_scan_stateIsLb1ELb1EEEEEvT_jjPNS5_10value_typeE.has_recursion, 0
	.set _ZN7rocprim17ROCPRIM_304000_NS6detail31init_lookback_scan_state_kernelINS1_19lookback_scan_stateIsLb1ELb1EEEEEvT_jjPNS5_10value_typeE.has_indirect_call, 0
	.section	.AMDGPU.csdata,"",@progbits
; Kernel info:
; codeLenInByte = 312
; TotalNumSgprs: 18
; NumVgprs: 6
; NumAgprs: 0
; TotalNumVgprs: 6
; ScratchSize: 0
; MemoryBound: 0
; FloatMode: 240
; IeeeMode: 1
; LDSByteSize: 0 bytes/workgroup (compile time only)
; SGPRBlocks: 2
; VGPRBlocks: 0
; NumSGPRsForWavesPerEU: 18
; NumVGPRsForWavesPerEU: 6
; AccumOffset: 8
; Occupancy: 8
; WaveLimiterHint : 0
; COMPUTE_PGM_RSRC2:SCRATCH_EN: 0
; COMPUTE_PGM_RSRC2:USER_SGPR: 2
; COMPUTE_PGM_RSRC2:TRAP_HANDLER: 0
; COMPUTE_PGM_RSRC2:TGID_X_EN: 1
; COMPUTE_PGM_RSRC2:TGID_Y_EN: 0
; COMPUTE_PGM_RSRC2:TGID_Z_EN: 0
; COMPUTE_PGM_RSRC2:TIDIG_COMP_CNT: 0
; COMPUTE_PGM_RSRC3_GFX90A:ACCUM_OFFSET: 1
; COMPUTE_PGM_RSRC3_GFX90A:TG_SPLIT: 0
	.section	.text._ZN7rocprim17ROCPRIM_304000_NS6detail31init_lookback_scan_state_kernelINS1_19lookback_scan_stateIsLb0ELb1EEEEEvT_jjPNS5_10value_typeE,"axG",@progbits,_ZN7rocprim17ROCPRIM_304000_NS6detail31init_lookback_scan_state_kernelINS1_19lookback_scan_stateIsLb0ELb1EEEEEvT_jjPNS5_10value_typeE,comdat
	.protected	_ZN7rocprim17ROCPRIM_304000_NS6detail31init_lookback_scan_state_kernelINS1_19lookback_scan_stateIsLb0ELb1EEEEEvT_jjPNS5_10value_typeE ; -- Begin function _ZN7rocprim17ROCPRIM_304000_NS6detail31init_lookback_scan_state_kernelINS1_19lookback_scan_stateIsLb0ELb1EEEEEvT_jjPNS5_10value_typeE
	.globl	_ZN7rocprim17ROCPRIM_304000_NS6detail31init_lookback_scan_state_kernelINS1_19lookback_scan_stateIsLb0ELb1EEEEEvT_jjPNS5_10value_typeE
	.p2align	8
	.type	_ZN7rocprim17ROCPRIM_304000_NS6detail31init_lookback_scan_state_kernelINS1_19lookback_scan_stateIsLb0ELb1EEEEEvT_jjPNS5_10value_typeE,@function
_ZN7rocprim17ROCPRIM_304000_NS6detail31init_lookback_scan_state_kernelINS1_19lookback_scan_stateIsLb0ELb1EEEEEvT_jjPNS5_10value_typeE: ; @_ZN7rocprim17ROCPRIM_304000_NS6detail31init_lookback_scan_state_kernelINS1_19lookback_scan_stateIsLb0ELb1EEEEEvT_jjPNS5_10value_typeE
; %bb.0:
	s_load_dword s3, s[0:1], 0x24
	s_load_dwordx2 s[8:9], s[0:1], 0x10
	s_load_dwordx4 s[4:7], s[0:1], 0x0
	s_waitcnt lgkmcnt(0)
	s_and_b32 s0, s3, 0xffff
	s_mul_i32 s2, s2, s0
	s_cmp_eq_u64 s[8:9], 0
	v_add_u32_e32 v0, s2, v0
	s_cbranch_scc1 .LBB47_6
; %bb.1:
	s_cmp_lt_u32 s7, s6
	s_cselect_b32 s0, s7, 0
	s_mov_b32 s3, 0
	v_cmp_eq_u32_e32 vcc, s0, v0
	s_and_saveexec_b64 s[0:1], vcc
	s_cbranch_execz .LBB47_5
; %bb.2:
	s_add_i32 s2, s7, 64
	s_lshl_b64 s[2:3], s[2:3], 2
	s_add_u32 s2, s4, s2
	s_addc_u32 s3, s5, s3
	v_mov_b32_e32 v2, 0
	global_load_dword v1, v2, s[2:3] sc1
	s_waitcnt vmcnt(0)
	v_and_b32_e32 v3, 0xff0000, v1
	v_cmp_ne_u32_e32 vcc, 0, v3
	s_cbranch_vccnz .LBB47_4
.LBB47_3:                               ; =>This Inner Loop Header: Depth=1
	global_load_dword v1, v2, s[2:3] sc1
	s_waitcnt vmcnt(0)
	v_and_b32_e32 v3, 0xff0000, v1
	v_cmp_eq_u32_e32 vcc, 0, v3
	s_cbranch_vccnz .LBB47_3
.LBB47_4:
	v_mov_b32_e32 v2, 0
	global_store_short v2, v1, s[8:9]
.LBB47_5:
	s_or_b64 exec, exec, s[0:1]
.LBB47_6:
	v_cmp_gt_u32_e32 vcc, s6, v0
	s_and_saveexec_b64 s[0:1], vcc
	s_cbranch_execnz .LBB47_9
; %bb.7:
	s_or_b64 exec, exec, s[0:1]
	v_cmp_gt_u32_e32 vcc, 64, v0
	s_and_saveexec_b64 s[0:1], vcc
	s_cbranch_execnz .LBB47_10
.LBB47_8:
	s_endpgm
.LBB47_9:
	v_add_u32_e32 v2, 64, v0
	v_mov_b32_e32 v3, 0
	v_lshl_add_u64 v[4:5], v[2:3], 2, s[4:5]
	global_store_dword v[4:5], v3, off
	s_or_b64 exec, exec, s[0:1]
	v_cmp_gt_u32_e32 vcc, 64, v0
	s_and_saveexec_b64 s[0:1], vcc
	s_cbranch_execz .LBB47_8
.LBB47_10:
	v_mov_b32_e32 v1, 0
	v_lshl_add_u64 v[0:1], v[0:1], 2, s[4:5]
	v_mov_b32_e32 v2, 0xff0000
	global_store_dword v[0:1], v2, off
	s_endpgm
	.section	.rodata,"a",@progbits
	.p2align	6, 0x0
	.amdhsa_kernel _ZN7rocprim17ROCPRIM_304000_NS6detail31init_lookback_scan_state_kernelINS1_19lookback_scan_stateIsLb0ELb1EEEEEvT_jjPNS5_10value_typeE
		.amdhsa_group_segment_fixed_size 0
		.amdhsa_private_segment_fixed_size 0
		.amdhsa_kernarg_size 280
		.amdhsa_user_sgpr_count 2
		.amdhsa_user_sgpr_dispatch_ptr 0
		.amdhsa_user_sgpr_queue_ptr 0
		.amdhsa_user_sgpr_kernarg_segment_ptr 1
		.amdhsa_user_sgpr_dispatch_id 0
		.amdhsa_user_sgpr_kernarg_preload_length 0
		.amdhsa_user_sgpr_kernarg_preload_offset 0
		.amdhsa_user_sgpr_private_segment_size 0
		.amdhsa_uses_dynamic_stack 0
		.amdhsa_enable_private_segment 0
		.amdhsa_system_sgpr_workgroup_id_x 1
		.amdhsa_system_sgpr_workgroup_id_y 0
		.amdhsa_system_sgpr_workgroup_id_z 0
		.amdhsa_system_sgpr_workgroup_info 0
		.amdhsa_system_vgpr_workitem_id 0
		.amdhsa_next_free_vgpr 6
		.amdhsa_next_free_sgpr 10
		.amdhsa_accum_offset 8
		.amdhsa_reserve_vcc 1
		.amdhsa_float_round_mode_32 0
		.amdhsa_float_round_mode_16_64 0
		.amdhsa_float_denorm_mode_32 3
		.amdhsa_float_denorm_mode_16_64 3
		.amdhsa_dx10_clamp 1
		.amdhsa_ieee_mode 1
		.amdhsa_fp16_overflow 0
		.amdhsa_tg_split 0
		.amdhsa_exception_fp_ieee_invalid_op 0
		.amdhsa_exception_fp_denorm_src 0
		.amdhsa_exception_fp_ieee_div_zero 0
		.amdhsa_exception_fp_ieee_overflow 0
		.amdhsa_exception_fp_ieee_underflow 0
		.amdhsa_exception_fp_ieee_inexact 0
		.amdhsa_exception_int_div_zero 0
	.end_amdhsa_kernel
	.section	.text._ZN7rocprim17ROCPRIM_304000_NS6detail31init_lookback_scan_state_kernelINS1_19lookback_scan_stateIsLb0ELb1EEEEEvT_jjPNS5_10value_typeE,"axG",@progbits,_ZN7rocprim17ROCPRIM_304000_NS6detail31init_lookback_scan_state_kernelINS1_19lookback_scan_stateIsLb0ELb1EEEEEvT_jjPNS5_10value_typeE,comdat
.Lfunc_end47:
	.size	_ZN7rocprim17ROCPRIM_304000_NS6detail31init_lookback_scan_state_kernelINS1_19lookback_scan_stateIsLb0ELb1EEEEEvT_jjPNS5_10value_typeE, .Lfunc_end47-_ZN7rocprim17ROCPRIM_304000_NS6detail31init_lookback_scan_state_kernelINS1_19lookback_scan_stateIsLb0ELb1EEEEEvT_jjPNS5_10value_typeE
                                        ; -- End function
	.set _ZN7rocprim17ROCPRIM_304000_NS6detail31init_lookback_scan_state_kernelINS1_19lookback_scan_stateIsLb0ELb1EEEEEvT_jjPNS5_10value_typeE.num_vgpr, 6
	.set _ZN7rocprim17ROCPRIM_304000_NS6detail31init_lookback_scan_state_kernelINS1_19lookback_scan_stateIsLb0ELb1EEEEEvT_jjPNS5_10value_typeE.num_agpr, 0
	.set _ZN7rocprim17ROCPRIM_304000_NS6detail31init_lookback_scan_state_kernelINS1_19lookback_scan_stateIsLb0ELb1EEEEEvT_jjPNS5_10value_typeE.numbered_sgpr, 10
	.set _ZN7rocprim17ROCPRIM_304000_NS6detail31init_lookback_scan_state_kernelINS1_19lookback_scan_stateIsLb0ELb1EEEEEvT_jjPNS5_10value_typeE.num_named_barrier, 0
	.set _ZN7rocprim17ROCPRIM_304000_NS6detail31init_lookback_scan_state_kernelINS1_19lookback_scan_stateIsLb0ELb1EEEEEvT_jjPNS5_10value_typeE.private_seg_size, 0
	.set _ZN7rocprim17ROCPRIM_304000_NS6detail31init_lookback_scan_state_kernelINS1_19lookback_scan_stateIsLb0ELb1EEEEEvT_jjPNS5_10value_typeE.uses_vcc, 1
	.set _ZN7rocprim17ROCPRIM_304000_NS6detail31init_lookback_scan_state_kernelINS1_19lookback_scan_stateIsLb0ELb1EEEEEvT_jjPNS5_10value_typeE.uses_flat_scratch, 0
	.set _ZN7rocprim17ROCPRIM_304000_NS6detail31init_lookback_scan_state_kernelINS1_19lookback_scan_stateIsLb0ELb1EEEEEvT_jjPNS5_10value_typeE.has_dyn_sized_stack, 0
	.set _ZN7rocprim17ROCPRIM_304000_NS6detail31init_lookback_scan_state_kernelINS1_19lookback_scan_stateIsLb0ELb1EEEEEvT_jjPNS5_10value_typeE.has_recursion, 0
	.set _ZN7rocprim17ROCPRIM_304000_NS6detail31init_lookback_scan_state_kernelINS1_19lookback_scan_stateIsLb0ELb1EEEEEvT_jjPNS5_10value_typeE.has_indirect_call, 0
	.section	.AMDGPU.csdata,"",@progbits
; Kernel info:
; codeLenInByte = 272
; TotalNumSgprs: 16
; NumVgprs: 6
; NumAgprs: 0
; TotalNumVgprs: 6
; ScratchSize: 0
; MemoryBound: 0
; FloatMode: 240
; IeeeMode: 1
; LDSByteSize: 0 bytes/workgroup (compile time only)
; SGPRBlocks: 1
; VGPRBlocks: 0
; NumSGPRsForWavesPerEU: 16
; NumVGPRsForWavesPerEU: 6
; AccumOffset: 8
; Occupancy: 8
; WaveLimiterHint : 0
; COMPUTE_PGM_RSRC2:SCRATCH_EN: 0
; COMPUTE_PGM_RSRC2:USER_SGPR: 2
; COMPUTE_PGM_RSRC2:TRAP_HANDLER: 0
; COMPUTE_PGM_RSRC2:TGID_X_EN: 1
; COMPUTE_PGM_RSRC2:TGID_Y_EN: 0
; COMPUTE_PGM_RSRC2:TGID_Z_EN: 0
; COMPUTE_PGM_RSRC2:TIDIG_COMP_CNT: 0
; COMPUTE_PGM_RSRC3_GFX90A:ACCUM_OFFSET: 1
; COMPUTE_PGM_RSRC3_GFX90A:TG_SPLIT: 0
	.section	.text._ZN7rocprim17ROCPRIM_304000_NS6detail20lookback_scan_kernelILNS1_25lookback_scan_determinismE0ELb0ENS1_19wrapped_scan_configINS0_14default_configEsEEPKsPsSt4plusIsEssNS1_19lookback_scan_stateIsLb1ELb1EEEEEvT2_T3_mT5_T4_T7_jPT6_SK_bb,"axG",@progbits,_ZN7rocprim17ROCPRIM_304000_NS6detail20lookback_scan_kernelILNS1_25lookback_scan_determinismE0ELb0ENS1_19wrapped_scan_configINS0_14default_configEsEEPKsPsSt4plusIsEssNS1_19lookback_scan_stateIsLb1ELb1EEEEEvT2_T3_mT5_T4_T7_jPT6_SK_bb,comdat
	.protected	_ZN7rocprim17ROCPRIM_304000_NS6detail20lookback_scan_kernelILNS1_25lookback_scan_determinismE0ELb0ENS1_19wrapped_scan_configINS0_14default_configEsEEPKsPsSt4plusIsEssNS1_19lookback_scan_stateIsLb1ELb1EEEEEvT2_T3_mT5_T4_T7_jPT6_SK_bb ; -- Begin function _ZN7rocprim17ROCPRIM_304000_NS6detail20lookback_scan_kernelILNS1_25lookback_scan_determinismE0ELb0ENS1_19wrapped_scan_configINS0_14default_configEsEEPKsPsSt4plusIsEssNS1_19lookback_scan_stateIsLb1ELb1EEEEEvT2_T3_mT5_T4_T7_jPT6_SK_bb
	.globl	_ZN7rocprim17ROCPRIM_304000_NS6detail20lookback_scan_kernelILNS1_25lookback_scan_determinismE0ELb0ENS1_19wrapped_scan_configINS0_14default_configEsEEPKsPsSt4plusIsEssNS1_19lookback_scan_stateIsLb1ELb1EEEEEvT2_T3_mT5_T4_T7_jPT6_SK_bb
	.p2align	8
	.type	_ZN7rocprim17ROCPRIM_304000_NS6detail20lookback_scan_kernelILNS1_25lookback_scan_determinismE0ELb0ENS1_19wrapped_scan_configINS0_14default_configEsEEPKsPsSt4plusIsEssNS1_19lookback_scan_stateIsLb1ELb1EEEEEvT2_T3_mT5_T4_T7_jPT6_SK_bb,@function
_ZN7rocprim17ROCPRIM_304000_NS6detail20lookback_scan_kernelILNS1_25lookback_scan_determinismE0ELb0ENS1_19wrapped_scan_configINS0_14default_configEsEEPKsPsSt4plusIsEssNS1_19lookback_scan_stateIsLb1ELb1EEEEEvT2_T3_mT5_T4_T7_jPT6_SK_bb: ; @_ZN7rocprim17ROCPRIM_304000_NS6detail20lookback_scan_kernelILNS1_25lookback_scan_determinismE0ELb0ENS1_19wrapped_scan_configINS0_14default_configEsEEPKsPsSt4plusIsEssNS1_19lookback_scan_stateIsLb1ELb1EEEEEvT2_T3_mT5_T4_T7_jPT6_SK_bb
; %bb.0:
	s_endpgm
	.section	.rodata,"a",@progbits
	.p2align	6, 0x0
	.amdhsa_kernel _ZN7rocprim17ROCPRIM_304000_NS6detail20lookback_scan_kernelILNS1_25lookback_scan_determinismE0ELb0ENS1_19wrapped_scan_configINS0_14default_configEsEEPKsPsSt4plusIsEssNS1_19lookback_scan_stateIsLb1ELb1EEEEEvT2_T3_mT5_T4_T7_jPT6_SK_bb
		.amdhsa_group_segment_fixed_size 0
		.amdhsa_private_segment_fixed_size 0
		.amdhsa_kernarg_size 68
		.amdhsa_user_sgpr_count 2
		.amdhsa_user_sgpr_dispatch_ptr 0
		.amdhsa_user_sgpr_queue_ptr 0
		.amdhsa_user_sgpr_kernarg_segment_ptr 1
		.amdhsa_user_sgpr_dispatch_id 0
		.amdhsa_user_sgpr_kernarg_preload_length 0
		.amdhsa_user_sgpr_kernarg_preload_offset 0
		.amdhsa_user_sgpr_private_segment_size 0
		.amdhsa_uses_dynamic_stack 0
		.amdhsa_enable_private_segment 0
		.amdhsa_system_sgpr_workgroup_id_x 1
		.amdhsa_system_sgpr_workgroup_id_y 0
		.amdhsa_system_sgpr_workgroup_id_z 0
		.amdhsa_system_sgpr_workgroup_info 0
		.amdhsa_system_vgpr_workitem_id 0
		.amdhsa_next_free_vgpr 1
		.amdhsa_next_free_sgpr 0
		.amdhsa_accum_offset 4
		.amdhsa_reserve_vcc 0
		.amdhsa_float_round_mode_32 0
		.amdhsa_float_round_mode_16_64 0
		.amdhsa_float_denorm_mode_32 3
		.amdhsa_float_denorm_mode_16_64 3
		.amdhsa_dx10_clamp 1
		.amdhsa_ieee_mode 1
		.amdhsa_fp16_overflow 0
		.amdhsa_tg_split 0
		.amdhsa_exception_fp_ieee_invalid_op 0
		.amdhsa_exception_fp_denorm_src 0
		.amdhsa_exception_fp_ieee_div_zero 0
		.amdhsa_exception_fp_ieee_overflow 0
		.amdhsa_exception_fp_ieee_underflow 0
		.amdhsa_exception_fp_ieee_inexact 0
		.amdhsa_exception_int_div_zero 0
	.end_amdhsa_kernel
	.section	.text._ZN7rocprim17ROCPRIM_304000_NS6detail20lookback_scan_kernelILNS1_25lookback_scan_determinismE0ELb0ENS1_19wrapped_scan_configINS0_14default_configEsEEPKsPsSt4plusIsEssNS1_19lookback_scan_stateIsLb1ELb1EEEEEvT2_T3_mT5_T4_T7_jPT6_SK_bb,"axG",@progbits,_ZN7rocprim17ROCPRIM_304000_NS6detail20lookback_scan_kernelILNS1_25lookback_scan_determinismE0ELb0ENS1_19wrapped_scan_configINS0_14default_configEsEEPKsPsSt4plusIsEssNS1_19lookback_scan_stateIsLb1ELb1EEEEEvT2_T3_mT5_T4_T7_jPT6_SK_bb,comdat
.Lfunc_end48:
	.size	_ZN7rocprim17ROCPRIM_304000_NS6detail20lookback_scan_kernelILNS1_25lookback_scan_determinismE0ELb0ENS1_19wrapped_scan_configINS0_14default_configEsEEPKsPsSt4plusIsEssNS1_19lookback_scan_stateIsLb1ELb1EEEEEvT2_T3_mT5_T4_T7_jPT6_SK_bb, .Lfunc_end48-_ZN7rocprim17ROCPRIM_304000_NS6detail20lookback_scan_kernelILNS1_25lookback_scan_determinismE0ELb0ENS1_19wrapped_scan_configINS0_14default_configEsEEPKsPsSt4plusIsEssNS1_19lookback_scan_stateIsLb1ELb1EEEEEvT2_T3_mT5_T4_T7_jPT6_SK_bb
                                        ; -- End function
	.set _ZN7rocprim17ROCPRIM_304000_NS6detail20lookback_scan_kernelILNS1_25lookback_scan_determinismE0ELb0ENS1_19wrapped_scan_configINS0_14default_configEsEEPKsPsSt4plusIsEssNS1_19lookback_scan_stateIsLb1ELb1EEEEEvT2_T3_mT5_T4_T7_jPT6_SK_bb.num_vgpr, 0
	.set _ZN7rocprim17ROCPRIM_304000_NS6detail20lookback_scan_kernelILNS1_25lookback_scan_determinismE0ELb0ENS1_19wrapped_scan_configINS0_14default_configEsEEPKsPsSt4plusIsEssNS1_19lookback_scan_stateIsLb1ELb1EEEEEvT2_T3_mT5_T4_T7_jPT6_SK_bb.num_agpr, 0
	.set _ZN7rocprim17ROCPRIM_304000_NS6detail20lookback_scan_kernelILNS1_25lookback_scan_determinismE0ELb0ENS1_19wrapped_scan_configINS0_14default_configEsEEPKsPsSt4plusIsEssNS1_19lookback_scan_stateIsLb1ELb1EEEEEvT2_T3_mT5_T4_T7_jPT6_SK_bb.numbered_sgpr, 0
	.set _ZN7rocprim17ROCPRIM_304000_NS6detail20lookback_scan_kernelILNS1_25lookback_scan_determinismE0ELb0ENS1_19wrapped_scan_configINS0_14default_configEsEEPKsPsSt4plusIsEssNS1_19lookback_scan_stateIsLb1ELb1EEEEEvT2_T3_mT5_T4_T7_jPT6_SK_bb.num_named_barrier, 0
	.set _ZN7rocprim17ROCPRIM_304000_NS6detail20lookback_scan_kernelILNS1_25lookback_scan_determinismE0ELb0ENS1_19wrapped_scan_configINS0_14default_configEsEEPKsPsSt4plusIsEssNS1_19lookback_scan_stateIsLb1ELb1EEEEEvT2_T3_mT5_T4_T7_jPT6_SK_bb.private_seg_size, 0
	.set _ZN7rocprim17ROCPRIM_304000_NS6detail20lookback_scan_kernelILNS1_25lookback_scan_determinismE0ELb0ENS1_19wrapped_scan_configINS0_14default_configEsEEPKsPsSt4plusIsEssNS1_19lookback_scan_stateIsLb1ELb1EEEEEvT2_T3_mT5_T4_T7_jPT6_SK_bb.uses_vcc, 0
	.set _ZN7rocprim17ROCPRIM_304000_NS6detail20lookback_scan_kernelILNS1_25lookback_scan_determinismE0ELb0ENS1_19wrapped_scan_configINS0_14default_configEsEEPKsPsSt4plusIsEssNS1_19lookback_scan_stateIsLb1ELb1EEEEEvT2_T3_mT5_T4_T7_jPT6_SK_bb.uses_flat_scratch, 0
	.set _ZN7rocprim17ROCPRIM_304000_NS6detail20lookback_scan_kernelILNS1_25lookback_scan_determinismE0ELb0ENS1_19wrapped_scan_configINS0_14default_configEsEEPKsPsSt4plusIsEssNS1_19lookback_scan_stateIsLb1ELb1EEEEEvT2_T3_mT5_T4_T7_jPT6_SK_bb.has_dyn_sized_stack, 0
	.set _ZN7rocprim17ROCPRIM_304000_NS6detail20lookback_scan_kernelILNS1_25lookback_scan_determinismE0ELb0ENS1_19wrapped_scan_configINS0_14default_configEsEEPKsPsSt4plusIsEssNS1_19lookback_scan_stateIsLb1ELb1EEEEEvT2_T3_mT5_T4_T7_jPT6_SK_bb.has_recursion, 0
	.set _ZN7rocprim17ROCPRIM_304000_NS6detail20lookback_scan_kernelILNS1_25lookback_scan_determinismE0ELb0ENS1_19wrapped_scan_configINS0_14default_configEsEEPKsPsSt4plusIsEssNS1_19lookback_scan_stateIsLb1ELb1EEEEEvT2_T3_mT5_T4_T7_jPT6_SK_bb.has_indirect_call, 0
	.section	.AMDGPU.csdata,"",@progbits
; Kernel info:
; codeLenInByte = 4
; TotalNumSgprs: 6
; NumVgprs: 0
; NumAgprs: 0
; TotalNumVgprs: 0
; ScratchSize: 0
; MemoryBound: 0
; FloatMode: 240
; IeeeMode: 1
; LDSByteSize: 0 bytes/workgroup (compile time only)
; SGPRBlocks: 0
; VGPRBlocks: 0
; NumSGPRsForWavesPerEU: 6
; NumVGPRsForWavesPerEU: 1
; AccumOffset: 4
; Occupancy: 8
; WaveLimiterHint : 0
; COMPUTE_PGM_RSRC2:SCRATCH_EN: 0
; COMPUTE_PGM_RSRC2:USER_SGPR: 2
; COMPUTE_PGM_RSRC2:TRAP_HANDLER: 0
; COMPUTE_PGM_RSRC2:TGID_X_EN: 1
; COMPUTE_PGM_RSRC2:TGID_Y_EN: 0
; COMPUTE_PGM_RSRC2:TGID_Z_EN: 0
; COMPUTE_PGM_RSRC2:TIDIG_COMP_CNT: 0
; COMPUTE_PGM_RSRC3_GFX90A:ACCUM_OFFSET: 0
; COMPUTE_PGM_RSRC3_GFX90A:TG_SPLIT: 0
	.section	.text._ZN7rocprim17ROCPRIM_304000_NS6detail20lookback_scan_kernelILNS1_25lookback_scan_determinismE0ELb0ENS1_19wrapped_scan_configINS0_14default_configEsEEPKsPsSt4plusIsEssNS1_19lookback_scan_stateIsLb0ELb1EEEEEvT2_T3_mT5_T4_T7_jPT6_SK_bb,"axG",@progbits,_ZN7rocprim17ROCPRIM_304000_NS6detail20lookback_scan_kernelILNS1_25lookback_scan_determinismE0ELb0ENS1_19wrapped_scan_configINS0_14default_configEsEEPKsPsSt4plusIsEssNS1_19lookback_scan_stateIsLb0ELb1EEEEEvT2_T3_mT5_T4_T7_jPT6_SK_bb,comdat
	.protected	_ZN7rocprim17ROCPRIM_304000_NS6detail20lookback_scan_kernelILNS1_25lookback_scan_determinismE0ELb0ENS1_19wrapped_scan_configINS0_14default_configEsEEPKsPsSt4plusIsEssNS1_19lookback_scan_stateIsLb0ELb1EEEEEvT2_T3_mT5_T4_T7_jPT6_SK_bb ; -- Begin function _ZN7rocprim17ROCPRIM_304000_NS6detail20lookback_scan_kernelILNS1_25lookback_scan_determinismE0ELb0ENS1_19wrapped_scan_configINS0_14default_configEsEEPKsPsSt4plusIsEssNS1_19lookback_scan_stateIsLb0ELb1EEEEEvT2_T3_mT5_T4_T7_jPT6_SK_bb
	.globl	_ZN7rocprim17ROCPRIM_304000_NS6detail20lookback_scan_kernelILNS1_25lookback_scan_determinismE0ELb0ENS1_19wrapped_scan_configINS0_14default_configEsEEPKsPsSt4plusIsEssNS1_19lookback_scan_stateIsLb0ELb1EEEEEvT2_T3_mT5_T4_T7_jPT6_SK_bb
	.p2align	8
	.type	_ZN7rocprim17ROCPRIM_304000_NS6detail20lookback_scan_kernelILNS1_25lookback_scan_determinismE0ELb0ENS1_19wrapped_scan_configINS0_14default_configEsEEPKsPsSt4plusIsEssNS1_19lookback_scan_stateIsLb0ELb1EEEEEvT2_T3_mT5_T4_T7_jPT6_SK_bb,@function
_ZN7rocprim17ROCPRIM_304000_NS6detail20lookback_scan_kernelILNS1_25lookback_scan_determinismE0ELb0ENS1_19wrapped_scan_configINS0_14default_configEsEEPKsPsSt4plusIsEssNS1_19lookback_scan_stateIsLb0ELb1EEEEEvT2_T3_mT5_T4_T7_jPT6_SK_bb: ; @_ZN7rocprim17ROCPRIM_304000_NS6detail20lookback_scan_kernelILNS1_25lookback_scan_determinismE0ELb0ENS1_19wrapped_scan_configINS0_14default_configEsEEPKsPsSt4plusIsEssNS1_19lookback_scan_stateIsLb0ELb1EEEEEvT2_T3_mT5_T4_T7_jPT6_SK_bb
; %bb.0:
	s_load_dword s3, s[0:1], 0x28
	s_load_dwordx4 s[12:15], s[0:1], 0x0
	s_load_dwordx2 s[4:5], s[0:1], 0x10
	s_mul_i32 s6, s2, 0x700
	s_mov_b32 s7, 0
	s_waitcnt lgkmcnt(0)
	s_add_i32 s3, s3, -1
	s_mul_i32 s8, s3, 0x700
	s_sub_u32 s22, s4, s8
	s_subb_u32 s23, s5, 0
	s_cmp_lg_u32 s2, s3
	s_cselect_b64 s[16:17], -1, 0
	s_lshl_b64 s[18:19], s[6:7], 1
	s_add_u32 s6, s12, s18
	s_addc_u32 s7, s13, s19
	s_mov_b64 s[4:5], -1
	s_and_b64 vcc, exec, s[16:17]
	v_lshlrev_b32_e32 v10, 1, v0
	s_cbranch_vccz .LBB49_2
; %bb.1:
	global_load_ushort v1, v10, s[6:7]
	global_load_ushort v2, v10, s[6:7] offset:256
	global_load_ushort v3, v10, s[6:7] offset:512
	;; [unrolled: 1-line block ×13, first 2 shown]
	s_mov_b64 s[4:5], 0
	s_waitcnt vmcnt(13)
	ds_write_b16 v10, v1
	s_waitcnt vmcnt(12)
	ds_write_b16 v10, v2 offset:256
	s_waitcnt vmcnt(11)
	ds_write_b16 v10, v3 offset:512
	;; [unrolled: 2-line block ×13, first 2 shown]
	s_waitcnt lgkmcnt(0)
	s_barrier
.LBB49_2:
	s_andn2_b64 vcc, exec, s[4:5]
	v_cmp_gt_u32_e64 s[4:5], s22, v0
	s_cbranch_vccnz .LBB49_32
; %bb.3:
	v_mov_b32_e32 v11, 0
	global_load_ushort v1, v11, s[6:7]
	v_lshl_add_u64 v[12:13], s[6:7], 0, v[10:11]
	s_waitcnt vmcnt(0)
	v_and_b32_e32 v2, 0xffff, v1
	v_lshl_or_b32 v2, v1, 16, v2
	v_mov_b32_e32 v3, v2
	v_mov_b32_e32 v4, v2
	;; [unrolled: 1-line block ×6, first 2 shown]
	s_and_saveexec_b64 s[6:7], s[4:5]
	s_cbranch_execz .LBB49_5
; %bb.4:
	global_load_ushort v1, v[12:13], off
	s_mov_b32 s3, 0xffff
	v_mov_b32_e32 v15, v2
	v_mov_b32_e32 v16, v2
	;; [unrolled: 1-line block ×6, first 2 shown]
	s_waitcnt vmcnt(0)
	v_bfi_b32 v14, s3, v1, v2
	v_mov_b64_e32 v[2:3], v[14:15]
	v_mov_b64_e32 v[4:5], v[16:17]
	;; [unrolled: 1-line block ×4, first 2 shown]
.LBB49_5:
	s_or_b64 exec, exec, s[6:7]
	v_or_b32_e32 v9, 0x80, v0
	v_cmp_gt_u32_e32 vcc, s22, v9
	s_and_saveexec_b64 s[4:5], vcc
	s_cbranch_execz .LBB49_7
; %bb.6:
	global_load_ushort v9, v[12:13], off offset:256
	s_mov_b32 s3, 0x5040100
	s_waitcnt vmcnt(0)
	v_perm_b32 v2, v9, v2, s3
.LBB49_7:
	s_or_b64 exec, exec, s[4:5]
	v_or_b32_e32 v9, 0x100, v0
	v_cmp_gt_u32_e32 vcc, s22, v9
	s_and_saveexec_b64 s[4:5], vcc
	s_cbranch_execz .LBB49_9
; %bb.8:
	global_load_ushort v9, v[12:13], off offset:512
	s_mov_b32 s3, 0xffff
	s_waitcnt vmcnt(0)
	v_bfi_b32 v3, s3, v9, v3
.LBB49_9:
	s_or_b64 exec, exec, s[4:5]
	v_or_b32_e32 v9, 0x180, v0
	v_cmp_gt_u32_e32 vcc, s22, v9
	s_and_saveexec_b64 s[4:5], vcc
	s_cbranch_execz .LBB49_11
; %bb.10:
	global_load_ushort v9, v[12:13], off offset:768
	s_mov_b32 s3, 0x5040100
	s_waitcnt vmcnt(0)
	v_perm_b32 v3, v9, v3, s3
.LBB49_11:
	s_or_b64 exec, exec, s[4:5]
	v_or_b32_e32 v9, 0x200, v0
	v_cmp_gt_u32_e32 vcc, s22, v9
	s_and_saveexec_b64 s[4:5], vcc
	s_cbranch_execz .LBB49_13
; %bb.12:
	global_load_ushort v9, v[12:13], off offset:1024
	s_mov_b32 s3, 0xffff
	s_waitcnt vmcnt(0)
	v_bfi_b32 v4, s3, v9, v4
.LBB49_13:
	;; [unrolled: 22-line block ×6, first 2 shown]
	s_or_b64 exec, exec, s[4:5]
	v_or_b32_e32 v9, 0x680, v0
	v_cmp_gt_u32_e32 vcc, s22, v9
	s_and_saveexec_b64 s[4:5], vcc
	s_cbranch_execz .LBB49_31
; %bb.30:
	global_load_ushort v9, v[12:13], off offset:3328
	s_mov_b32 s3, 0x5040100
	s_waitcnt vmcnt(0)
	v_perm_b32 v8, v9, v8, s3
.LBB49_31:
	s_or_b64 exec, exec, s[4:5]
	ds_write_b16 v10, v1
	ds_write_b16_d16_hi v10, v2 offset:256
	ds_write_b16 v10, v3 offset:512
	ds_write_b16_d16_hi v10, v3 offset:768
	ds_write_b16 v10, v4 offset:1024
	;; [unrolled: 2-line block ×6, first 2 shown]
	ds_write_b16_d16_hi v10, v8 offset:3328
	s_waitcnt lgkmcnt(0)
	s_barrier
.LBB49_32:
	v_mul_u32_u24_e32 v1, 28, v0
	ds_read2_b32 v[16:17], v1 offset1:1
	ds_read2_b32 v[14:15], v1 offset0:2 offset1:3
	ds_read2_b32 v[12:13], v1 offset0:4 offset1:5
	ds_read_b32 v11, v1 offset:24
	s_load_dwordx2 s[12:13], s[0:1], 0x20
	s_cmp_lg_u32 s2, 0
	v_mbcnt_lo_u32_b32 v20, -1, 0
	v_lshrrev_b32_e32 v18, 6, v0
	v_or_b32_e32 v19, 63, v0
	s_waitcnt lgkmcnt(0)
	s_barrier
	s_cbranch_scc0 .LBB49_54
; %bb.33:
	v_add_u16_sdwa v2, v16, v16 dst_sel:DWORD dst_unused:UNUSED_PAD src0_sel:WORD_1 src1_sel:DWORD
	v_add_u16_e32 v2, v2, v17
	v_add_u16_sdwa v2, v2, v17 dst_sel:DWORD dst_unused:UNUSED_PAD src0_sel:DWORD src1_sel:WORD_1
	v_add_u16_e32 v2, v2, v14
	v_add_u16_sdwa v2, v2, v14 dst_sel:DWORD dst_unused:UNUSED_PAD src0_sel:DWORD src1_sel:WORD_1
	;; [unrolled: 2-line block ×5, first 2 shown]
	v_add_u16_e32 v2, v2, v11
	v_mbcnt_hi_u32_b32 v3, -1, v20
	v_add_u16_sdwa v2, v2, v11 dst_sel:DWORD dst_unused:UNUSED_PAD src0_sel:DWORD src1_sel:WORD_1
	v_and_b32_e32 v4, 15, v3
	v_cmp_ne_u32_e32 vcc, 0, v4
	v_mov_b32_dpp v5, v2 row_shr:1 row_mask:0xf bank_mask:0xf
	s_nop 0
	v_cndmask_b32_e32 v5, 0, v5, vcc
	v_add_u16_e32 v2, v5, v2
	v_cmp_lt_u32_e32 vcc, 1, v4
	s_nop 0
	v_mov_b32_dpp v5, v2 row_shr:2 row_mask:0xf bank_mask:0xf
	v_cndmask_b32_e32 v5, 0, v5, vcc
	v_add_u16_e32 v2, v2, v5
	v_cmp_lt_u32_e32 vcc, 3, v4
	s_nop 0
	v_mov_b32_dpp v5, v2 row_shr:4 row_mask:0xf bank_mask:0xf
	;; [unrolled: 5-line block ×3, first 2 shown]
	v_cndmask_b32_e32 v4, 0, v5, vcc
	v_add_u16_e32 v2, v2, v4
	v_and_b32_e32 v5, 16, v3
	v_cmp_ne_u32_e32 vcc, 0, v5
	v_mov_b32_dpp v4, v2 row_bcast:15 row_mask:0xf bank_mask:0xf
	s_nop 0
	v_cndmask_b32_e32 v4, 0, v4, vcc
	v_add_u16_e32 v2, v2, v4
	v_cmp_lt_u32_e32 vcc, 31, v3
	s_nop 0
	v_mov_b32_dpp v4, v2 row_bcast:31 row_mask:0xf bank_mask:0xf
	v_cndmask_b32_e32 v4, 0, v4, vcc
	v_add_u16_e32 v2, v2, v4
	v_cmp_eq_u32_e32 vcc, v0, v19
	s_and_saveexec_b64 s[4:5], vcc
; %bb.34:
	v_lshlrev_b32_e32 v4, 1, v18
	ds_write_b16 v4, v2
; %bb.35:
	s_or_b64 exec, exec, s[4:5]
	v_cmp_gt_u32_e32 vcc, 2, v0
	s_waitcnt lgkmcnt(0)
	s_barrier
	s_and_saveexec_b64 s[4:5], vcc
	s_cbranch_execz .LBB49_37
; %bb.36:
	ds_read_u16 v4, v10
	v_and_b32_e32 v5, 1, v3
	v_cmp_eq_u32_e32 vcc, 1, v5
	s_waitcnt lgkmcnt(0)
	v_and_b32_e32 v6, 0xffff, v4
	s_nop 1
	v_mov_b32_dpp v6, v6 row_shr:1 row_mask:0xf bank_mask:0xf
	v_cndmask_b32_e32 v5, 0, v6, vcc
	v_add_u16_e32 v4, v5, v4
	ds_write_b16 v10, v4
.LBB49_37:
	s_or_b64 exec, exec, s[4:5]
	v_cmp_gt_u32_e32 vcc, 64, v0
	v_cmp_lt_u32_e64 s[4:5], 63, v0
	s_waitcnt lgkmcnt(0)
	s_barrier
                                        ; implicit-def: $vgpr8
	s_and_saveexec_b64 s[6:7], s[4:5]
	s_cbranch_execz .LBB49_39
; %bb.38:
	v_lshl_add_u32 v4, v18, 1, -2
	ds_read_u16 v8, v4
	s_waitcnt lgkmcnt(0)
	v_add_u16_e32 v2, v8, v2
.LBB49_39:
	s_or_b64 exec, exec, s[6:7]
	v_subrev_co_u32_e64 v4, s[4:5], 1, v3
	v_and_b32_e32 v5, 64, v3
	v_cmp_lt_i32_e64 s[6:7], v4, v5
	v_and_b32_e32 v2, 0xffff, v2
	s_nop 0
	v_cndmask_b32_e64 v4, v4, v3, s[6:7]
	v_lshlrev_b32_e32 v4, 2, v4
	ds_bpermute_b32 v9, v4, v2
	s_and_saveexec_b64 s[20:21], vcc
	s_cbranch_execz .LBB49_59
; %bb.40:
	v_mov_b32_e32 v5, 0
	ds_read_u16 v21, v5 offset:2
	s_and_saveexec_b64 s[6:7], s[4:5]
	s_cbranch_execz .LBB49_42
; %bb.41:
	s_add_i32 s8, s2, 64
	s_mov_b32 s9, 0
	s_lshl_b64 s[8:9], s[8:9], 2
	s_add_u32 s8, s12, s8
	s_waitcnt lgkmcnt(0)
	v_or_b32_e32 v2, 0x10000, v21
	s_addc_u32 s9, s13, s9
	global_store_dword v5, v2, s[8:9] sc1
.LBB49_42:
	s_or_b64 exec, exec, s[6:7]
	v_xad_u32 v2, v3, -1, s2
	v_add_u32_e32 v4, 64, v2
	v_lshl_add_u64 v[6:7], v[4:5], 2, s[12:13]
	global_load_dword v32, v[6:7], off sc1
	s_waitcnt vmcnt(0)
	v_lshrrev_b32_e32 v22, 16, v32
	v_cmp_eq_u16_sdwa s[8:9], v22, v5 src0_sel:BYTE_0 src1_sel:DWORD
	s_and_saveexec_b64 s[6:7], s[8:9]
	s_cbranch_execz .LBB49_46
; %bb.43:
	s_mov_b64 s[8:9], 0
	v_mov_b32_e32 v4, 0
.LBB49_44:                              ; =>This Inner Loop Header: Depth=1
	global_load_dword v32, v[6:7], off sc1
	s_waitcnt vmcnt(0)
	v_lshrrev_b32_e32 v22, 16, v32
	v_cmp_ne_u16_sdwa s[10:11], v22, v4 src0_sel:BYTE_0 src1_sel:DWORD
	s_or_b64 s[8:9], s[10:11], s[8:9]
	s_andn2_b64 exec, exec, s[8:9]
	s_cbranch_execnz .LBB49_44
; %bb.45:
	s_or_b64 exec, exec, s[8:9]
.LBB49_46:
	s_or_b64 exec, exec, s[6:7]
	v_and_b32_e32 v33, 63, v3
	v_cmp_ne_u32_e32 vcc, 63, v33
	v_mov_b32_e32 v23, 2
	v_cmp_eq_u16_sdwa s[6:7], v22, v23 src0_sel:BYTE_0 src1_sel:DWORD
	v_addc_co_u32_e32 v24, vcc, 0, v3, vcc
	v_lshlrev_b64 v[4:5], v3, -1
	v_lshlrev_b32_e32 v24, 2, v24
	v_and_b32_e32 v26, 0xffff, v32
	v_and_b32_e32 v6, s7, v5
	ds_bpermute_b32 v27, v24, v26
	v_or_b32_e32 v6, 0x80000000, v6
	v_and_b32_e32 v7, s6, v4
	v_ffbl_b32_e32 v6, v6
	v_add_u32_e32 v6, 32, v6
	v_ffbl_b32_e32 v7, v7
	v_min_u32_e32 v6, v7, v6
	v_add_u32_e32 v25, 1, v3
	s_waitcnt lgkmcnt(0)
	v_add_u16_e32 v7, v27, v32
	v_cmp_le_u32_e32 vcc, v25, v6
	v_cmp_gt_u32_e64 s[6:7], 62, v33
	v_add_u32_e32 v27, 2, v3
	v_cndmask_b32_e32 v28, v26, v7, vcc
	v_cndmask_b32_e64 v26, 0, 2, s[6:7]
	v_add_lshl_u32 v26, v26, v3, 2
	ds_bpermute_b32 v29, v26, v28
	v_cndmask_b32_e32 v7, v32, v7, vcc
	v_cmp_le_u32_e64 s[6:7], v27, v6
	v_cmp_gt_u32_e64 s[8:9], 60, v33
	v_cmp_gt_u32_e64 s[10:11], 56, v33
	s_waitcnt lgkmcnt(0)
	v_add_u16_e32 v29, v7, v29
	v_cndmask_b32_e64 v30, v28, v29, s[6:7]
	v_cndmask_b32_e64 v28, 0, 4, s[8:9]
	v_add_lshl_u32 v28, v28, v3, 2
	ds_bpermute_b32 v31, v28, v30
	v_cndmask_b32_e64 v7, v7, v29, s[6:7]
	v_add_u32_e32 v29, 4, v3
	v_cmp_le_u32_e64 s[8:9], v29, v6
	s_waitcnt lgkmcnt(0)
	v_add_u16_e32 v31, v7, v31
	v_cndmask_b32_e64 v34, v30, v31, s[8:9]
	v_cndmask_b32_e64 v30, 0, 8, s[10:11]
	v_add_lshl_u32 v30, v30, v3, 2
	ds_bpermute_b32 v35, v30, v34
	s_or_b64 s[10:11], vcc, s[6:7]
	v_cndmask_b32_e64 v7, v7, v31, s[8:9]
	v_add_u32_e32 v31, 8, v3
	v_cmp_gt_u32_e64 s[6:7], 48, v33
	s_waitcnt lgkmcnt(0)
	v_add_u16_e32 v35, v7, v35
	v_cmp_le_u32_e32 vcc, v31, v6
	v_cndmask_b32_e64 v33, 0, 16, s[6:7]
	v_add_lshl_u32 v33, v33, v3, 2
	v_cndmask_b32_e32 v36, v34, v35, vcc
	ds_bpermute_b32 v37, v33, v36
	s_or_b64 s[6:7], s[8:9], s[10:11]
	v_cndmask_b32_e32 v7, v7, v35, vcc
	v_add_u32_e32 v34, 16, v3
	s_or_b64 s[6:7], vcc, s[6:7]
	s_waitcnt lgkmcnt(0)
	v_add_u16_e32 v37, v7, v37
	v_cmp_le_u32_e32 vcc, v34, v6
	v_mov_b32_e32 v35, 0x80
	v_lshl_or_b32 v35, v3, 2, v35
	v_cndmask_b32_e32 v36, v36, v37, vcc
	ds_bpermute_b32 v38, v35, v36
	v_add_u32_e32 v36, 32, v3
	s_or_b64 s[6:7], vcc, s[6:7]
	v_cndmask_b32_e32 v3, v7, v37, vcc
	v_cmp_le_u32_e32 vcc, v36, v6
	s_waitcnt lgkmcnt(0)
	s_nop 0
	v_cndmask_b32_e32 v6, 0, v38, vcc
	v_add_u16_e32 v3, v3, v6
	s_or_b64 vcc, vcc, s[6:7]
	v_cndmask_b32_e32 v6, v32, v3, vcc
	v_mov_b32_e32 v3, 0
	s_branch .LBB49_50
.LBB49_47:                              ;   in Loop: Header=BB49_50 Depth=1
	s_or_b64 exec, exec, s[8:9]
.LBB49_48:                              ;   in Loop: Header=BB49_50 Depth=1
	s_or_b64 exec, exec, s[6:7]
	v_cmp_eq_u16_sdwa s[6:7], v22, v23 src0_sel:BYTE_0 src1_sel:DWORD
	v_and_b32_e32 v38, 0xffff, v37
	ds_bpermute_b32 v39, v24, v38
	v_and_b32_e32 v6, s7, v5
	v_or_b32_e32 v6, 0x80000000, v6
	v_and_b32_e32 v7, s6, v4
	v_ffbl_b32_e32 v6, v6
	v_add_u32_e32 v6, 32, v6
	v_ffbl_b32_e32 v7, v7
	v_min_u32_e32 v6, v7, v6
	s_waitcnt lgkmcnt(0)
	v_add_u16_e32 v7, v39, v37
	v_cmp_le_u32_e32 vcc, v25, v6
	v_cmp_le_u32_e64 s[6:7], v27, v6
	v_cmp_le_u32_e64 s[8:9], v29, v6
	v_cndmask_b32_e32 v38, v38, v7, vcc
	ds_bpermute_b32 v39, v26, v38
	v_cndmask_b32_e32 v7, v37, v7, vcc
	v_cmp_le_u32_e64 s[10:11], v31, v6
	v_subrev_u32_e32 v2, 64, v2
	s_waitcnt lgkmcnt(0)
	v_add_u16_e32 v39, v7, v39
	v_cndmask_b32_e64 v38, v38, v39, s[6:7]
	ds_bpermute_b32 v40, v28, v38
	v_cndmask_b32_e64 v7, v7, v39, s[6:7]
	s_or_b64 s[6:7], vcc, s[6:7]
	v_cmp_le_u32_e32 vcc, v34, v6
	s_or_b64 s[6:7], s[8:9], s[6:7]
	s_waitcnt lgkmcnt(0)
	v_add_u16_e32 v39, v7, v40
	v_cndmask_b32_e64 v38, v38, v39, s[8:9]
	ds_bpermute_b32 v40, v30, v38
	v_cndmask_b32_e64 v7, v7, v39, s[8:9]
	s_or_b64 s[6:7], s[10:11], s[6:7]
	s_or_b64 s[6:7], vcc, s[6:7]
	s_waitcnt lgkmcnt(0)
	v_add_u16_e32 v39, v7, v40
	v_cndmask_b32_e64 v38, v38, v39, s[10:11]
	ds_bpermute_b32 v40, v33, v38
	v_cndmask_b32_e64 v7, v7, v39, s[10:11]
	s_waitcnt lgkmcnt(0)
	v_add_u16_e32 v39, v7, v40
	v_cndmask_b32_e32 v38, v38, v39, vcc
	ds_bpermute_b32 v38, v35, v38
	v_cndmask_b32_e32 v7, v7, v39, vcc
	v_cmp_le_u32_e32 vcc, v36, v6
	s_waitcnt lgkmcnt(0)
	s_nop 0
	v_cndmask_b32_e32 v6, 0, v38, vcc
	v_add_u16_e32 v6, v7, v6
	s_or_b64 vcc, vcc, s[6:7]
	v_cndmask_b32_e32 v6, v37, v6, vcc
	v_add_u16_e32 v6, v6, v32
	s_mov_b64 s[6:7], 0
.LBB49_49:                              ;   in Loop: Header=BB49_50 Depth=1
	s_and_b64 vcc, exec, s[6:7]
	s_cbranch_vccnz .LBB49_55
.LBB49_50:                              ; =>This Loop Header: Depth=1
                                        ;     Child Loop BB49_53 Depth 2
	v_cmp_ne_u16_sdwa s[6:7], v22, v23 src0_sel:BYTE_0 src1_sel:DWORD
	v_mov_b32_e32 v32, v6
	s_cmp_lg_u64 s[6:7], exec
	s_mov_b64 s[6:7], -1
                                        ; implicit-def: $vgpr6
                                        ; implicit-def: $vgpr22
	s_cbranch_scc1 .LBB49_49
; %bb.51:                               ;   in Loop: Header=BB49_50 Depth=1
	v_lshl_add_u64 v[6:7], v[2:3], 2, s[12:13]
	global_load_dword v37, v[6:7], off sc1
	s_waitcnt vmcnt(0)
	v_lshrrev_b32_e32 v22, 16, v37
	v_cmp_eq_u16_sdwa s[8:9], v22, v3 src0_sel:BYTE_0 src1_sel:DWORD
	s_and_saveexec_b64 s[6:7], s[8:9]
	s_cbranch_execz .LBB49_48
; %bb.52:                               ;   in Loop: Header=BB49_50 Depth=1
	s_mov_b64 s[8:9], 0
.LBB49_53:                              ;   Parent Loop BB49_50 Depth=1
                                        ; =>  This Inner Loop Header: Depth=2
	global_load_dword v37, v[6:7], off sc1
	s_waitcnt vmcnt(0)
	v_lshrrev_b32_e32 v22, 16, v37
	v_cmp_ne_u16_sdwa s[10:11], v22, v3 src0_sel:BYTE_0 src1_sel:DWORD
	s_or_b64 s[8:9], s[10:11], s[8:9]
	s_andn2_b64 exec, exec, s[8:9]
	s_cbranch_execnz .LBB49_53
	s_branch .LBB49_47
.LBB49_54:
                                        ; implicit-def: $vgpr2_vgpr3_vgpr4_vgpr5_vgpr6_vgpr7_vgpr8_vgpr9
	s_load_dwordx4 s[4:7], s[0:1], 0x30
	s_cbranch_execnz .LBB49_60
	s_branch .LBB49_71
.LBB49_55:
	s_and_saveexec_b64 s[6:7], s[4:5]
	s_cbranch_execz .LBB49_57
; %bb.56:
	s_add_i32 s2, s2, 64
	s_mov_b32 s3, 0
	s_lshl_b64 s[2:3], s[2:3], 2
	v_add_u16_e32 v2, v32, v21
	s_add_u32 s2, s12, s2
	v_or_b32_e32 v2, 0x20000, v2
	s_addc_u32 s3, s13, s3
	v_mov_b32_e32 v3, 0
	global_store_dword v3, v2, s[2:3] sc1
.LBB49_57:
	s_or_b64 exec, exec, s[6:7]
	v_cmp_eq_u32_e32 vcc, 0, v0
	s_and_b64 exec, exec, vcc
; %bb.58:
	v_mov_b32_e32 v2, 0
	ds_write_b16 v2, v32 offset:2
.LBB49_59:
	s_or_b64 exec, exec, s[20:21]
	v_mov_b32_e32 v2, 0
	s_waitcnt lgkmcnt(0)
	s_barrier
	ds_read_u16 v2, v2 offset:2
	v_cndmask_b32_e64 v3, v9, v8, s[4:5]
	v_cmp_ne_u32_e32 vcc, 0, v0
	s_mov_b32 s2, 0x5040100
	s_nop 0
	v_cndmask_b32_e32 v3, 0, v3, vcc
	v_add_u16_e32 v3, v3, v16
	s_waitcnt lgkmcnt(0)
	v_add_u16_e32 v2, v3, v2
	v_add_u16_sdwa v3, v2, v16 dst_sel:DWORD dst_unused:UNUSED_PAD src0_sel:DWORD src1_sel:WORD_1
	v_add_u16_e32 v4, v3, v17
	v_add_u16_sdwa v5, v4, v17 dst_sel:DWORD dst_unused:UNUSED_PAD src0_sel:DWORD src1_sel:WORD_1
	;; [unrolled: 2-line block ×7, first 2 shown]
	v_perm_b32 v2, v3, v2, s2
	v_perm_b32 v3, v5, v4, s2
	;; [unrolled: 1-line block ×7, first 2 shown]
	s_load_dwordx4 s[4:7], s[0:1], 0x30
	s_branch .LBB49_71
.LBB49_60:
	s_load_dword s2, s[0:1], 0x40
	v_cmp_eq_u32_e32 vcc, 0, v0
	s_waitcnt lgkmcnt(0)
	s_bitcmp1_b32 s2, 0
	s_cselect_b64 s[2:3], -1, 0
	s_and_b64 s[8:9], vcc, s[2:3]
	s_and_saveexec_b64 s[2:3], s[8:9]
	s_cbranch_execz .LBB49_62
; %bb.61:
	v_mov_b32_e32 v2, 0
	global_load_ushort v2, v2, s[4:5]
	s_mov_b32 s4, 0xffff
	s_waitcnt vmcnt(0)
	v_add_u16_e32 v2, v2, v16
	v_bfi_b32 v16, s4, v2, v16
.LBB49_62:
	s_or_b64 exec, exec, s[2:3]
	v_add_u16_sdwa v2, v16, v16 dst_sel:DWORD dst_unused:UNUSED_PAD src0_sel:WORD_1 src1_sel:DWORD
	v_add_u16_e32 v2, v2, v17
	v_add_u16_sdwa v2, v2, v17 dst_sel:DWORD dst_unused:UNUSED_PAD src0_sel:DWORD src1_sel:WORD_1
	v_add_u16_e32 v2, v2, v14
	v_add_u16_sdwa v2, v2, v14 dst_sel:DWORD dst_unused:UNUSED_PAD src0_sel:DWORD src1_sel:WORD_1
	;; [unrolled: 2-line block ×6, first 2 shown]
	v_mbcnt_hi_u32_b32 v2, -1, v20
	v_and_b32_e32 v4, 15, v2
	v_mov_b32_dpp v5, v3 row_shr:1 row_mask:0xf bank_mask:0xf
	v_cmp_ne_u32_e64 s[2:3], 0, v4
	s_nop 1
	v_cndmask_b32_e64 v5, 0, v5, s[2:3]
	v_add_u16_e32 v3, v3, v5
	v_cmp_lt_u32_e64 s[2:3], 1, v4
	s_nop 0
	v_mov_b32_dpp v5, v3 row_shr:2 row_mask:0xf bank_mask:0xf
	v_cndmask_b32_e64 v5, 0, v5, s[2:3]
	v_add_u16_e32 v3, v3, v5
	v_cmp_lt_u32_e64 s[2:3], 3, v4
	s_nop 0
	v_mov_b32_dpp v5, v3 row_shr:4 row_mask:0xf bank_mask:0xf
	v_cndmask_b32_e64 v5, 0, v5, s[2:3]
	v_add_u16_e32 v3, v3, v5
	v_cmp_lt_u32_e64 s[2:3], 7, v4
	s_nop 0
	v_mov_b32_dpp v5, v3 row_shr:8 row_mask:0xf bank_mask:0xf
	v_cndmask_b32_e64 v4, 0, v5, s[2:3]
	v_add_u16_e32 v3, v3, v4
	v_and_b32_e32 v5, 16, v2
	v_cmp_ne_u32_e64 s[2:3], 0, v5
	v_mov_b32_dpp v4, v3 row_bcast:15 row_mask:0xf bank_mask:0xf
	s_nop 0
	v_cndmask_b32_e64 v4, 0, v4, s[2:3]
	v_add_u16_e32 v3, v3, v4
	v_cmp_lt_u32_e64 s[2:3], 31, v2
	s_nop 0
	v_mov_b32_dpp v4, v3 row_bcast:31 row_mask:0xf bank_mask:0xf
	v_cndmask_b32_e64 v4, 0, v4, s[2:3]
	v_add_u16_e32 v3, v3, v4
	v_cmp_eq_u32_e64 s[2:3], v0, v19
	s_and_saveexec_b64 s[4:5], s[2:3]
; %bb.63:
	v_lshlrev_b32_e32 v4, 1, v18
	ds_write_b16 v4, v3
; %bb.64:
	s_or_b64 exec, exec, s[4:5]
	v_cmp_gt_u32_e64 s[2:3], 2, v0
	s_waitcnt lgkmcnt(0)
	s_barrier
	s_and_saveexec_b64 s[4:5], s[2:3]
	s_cbranch_execz .LBB49_66
; %bb.65:
	s_movk_i32 s2, 0xffe6
	v_mad_i32_i24 v4, v0, s2, v1
	ds_read_u16 v5, v4
	v_and_b32_e32 v6, 1, v2
	v_cmp_eq_u32_e64 s[2:3], 1, v6
	s_waitcnt lgkmcnt(0)
	v_and_b32_e32 v7, 0xffff, v5
	s_nop 1
	v_mov_b32_dpp v7, v7 row_shr:1 row_mask:0xf bank_mask:0xf
	v_cndmask_b32_e64 v6, 0, v7, s[2:3]
	v_add_u16_e32 v5, v6, v5
	ds_write_b16 v4, v5
.LBB49_66:
	s_or_b64 exec, exec, s[4:5]
	v_cmp_lt_u32_e64 s[2:3], 63, v0
	s_waitcnt lgkmcnt(0)
	s_barrier
                                        ; implicit-def: $vgpr4
	s_and_saveexec_b64 s[4:5], s[2:3]
	s_cbranch_execz .LBB49_68
; %bb.67:
	v_lshl_add_u32 v4, v18, 1, -2
	ds_read_u16 v4, v4
	s_waitcnt lgkmcnt(0)
	v_add_u16_e32 v3, v4, v3
.LBB49_68:
	s_or_b64 exec, exec, s[4:5]
	v_subrev_co_u32_e64 v5, s[2:3], 1, v2
	v_and_b32_e32 v6, 64, v2
	v_cmp_lt_i32_e64 s[4:5], v5, v6
	v_and_b32_e32 v3, 0xffff, v3
	s_nop 0
	v_cndmask_b32_e64 v2, v5, v2, s[4:5]
	v_lshlrev_b32_e32 v2, 2, v2
	ds_bpermute_b32 v2, v2, v3
	s_waitcnt lgkmcnt(0)
	v_cndmask_b32_e64 v2, v2, v4, s[2:3]
	v_cndmask_b32_e64 v2, v2, 0, vcc
	v_add_u16_e32 v2, v2, v16
	v_add_u16_sdwa v3, v2, v16 dst_sel:DWORD dst_unused:UNUSED_PAD src0_sel:DWORD src1_sel:WORD_1
	v_add_u16_e32 v4, v3, v17
	v_add_u16_sdwa v5, v4, v17 dst_sel:DWORD dst_unused:UNUSED_PAD src0_sel:DWORD src1_sel:WORD_1
	;; [unrolled: 2-line block ×7, first 2 shown]
	s_mov_b32 s2, 0x5040100
	v_perm_b32 v2, v3, v2, s2
	v_perm_b32 v3, v5, v4, s2
	;; [unrolled: 1-line block ×7, first 2 shown]
	s_and_saveexec_b64 s[2:3], vcc
	s_cbranch_execz .LBB49_70
; %bb.69:
	v_mov_b32_e32 v9, 0
	ds_read_u16 v11, v9 offset:2
	s_waitcnt lgkmcnt(0)
	v_or_b32_e32 v11, 0x20000, v11
	global_store_dword v9, v11, s[12:13] offset:256 sc1
.LBB49_70:
	s_or_b64 exec, exec, s[2:3]
.LBB49_71:
	s_add_u32 s2, s14, s18
	s_addc_u32 s3, s15, s19
	s_waitcnt lgkmcnt(0)
	s_mov_b64 s[4:5], -1
	s_and_b64 vcc, exec, s[16:17]
	s_barrier
	s_cbranch_vccz .LBB49_73
; %bb.72:
	ds_write2_b32 v1, v2, v3 offset1:1
	ds_write2_b32 v1, v4, v5 offset0:2 offset1:3
	ds_write2_b32 v1, v6, v7 offset0:4 offset1:5
	ds_write_b32 v1, v8 offset:24
	s_waitcnt lgkmcnt(0)
	s_barrier
	ds_read_u16 v9, v10
	ds_read_u16 v11, v10 offset:256
	ds_read_u16 v12, v10 offset:512
	;; [unrolled: 1-line block ×13, first 2 shown]
	s_waitcnt lgkmcnt(13)
	global_store_short v10, v9, s[2:3]
	s_waitcnt lgkmcnt(12)
	global_store_short v10, v11, s[2:3] offset:256
	s_waitcnt lgkmcnt(11)
	global_store_short v10, v12, s[2:3] offset:512
	;; [unrolled: 2-line block ×13, first 2 shown]
	s_mov_b64 s[4:5], 0
.LBB49_73:
	s_andn2_b64 vcc, exec, s[4:5]
	s_cbranch_vccnz .LBB49_153
; %bb.74:
	ds_write2_b32 v1, v2, v3 offset1:1
	ds_write2_b32 v1, v4, v5 offset0:2 offset1:3
	ds_write2_b32 v1, v6, v7 offset0:4 offset1:5
	ds_write_b32 v1, v8 offset:24
	s_waitcnt lgkmcnt(0)
	s_barrier
	ds_read_u16 v6, v10
	ds_read_u16 v5, v10 offset:256
	ds_read_u16 v7, v10 offset:512
	;; [unrolled: 1-line block ×13, first 2 shown]
	v_mov_b32_e32 v11, 0
	v_lshl_add_u64 v[2:3], s[2:3], 0, v[10:11]
	v_cmp_gt_u32_e32 vcc, s22, v0
	s_and_saveexec_b64 s[2:3], vcc
	s_cbranch_execz .LBB49_76
; %bb.75:
	s_waitcnt lgkmcnt(13)
	global_store_short v[2:3], v6, off
.LBB49_76:
	s_or_b64 exec, exec, s[2:3]
	v_or_b32_e32 v1, 0x80, v0
	v_cmp_gt_u32_e32 vcc, s22, v1
	s_and_saveexec_b64 s[2:3], vcc
	s_cbranch_execz .LBB49_78
; %bb.77:
	s_waitcnt lgkmcnt(12)
	global_store_short v[2:3], v5, off offset:256
.LBB49_78:
	s_or_b64 exec, exec, s[2:3]
	v_or_b32_e32 v1, 0x100, v0
	v_cmp_gt_u32_e32 vcc, s22, v1
	s_and_saveexec_b64 s[2:3], vcc
	s_cbranch_execz .LBB49_80
; %bb.79:
	s_waitcnt lgkmcnt(11)
	global_store_short v[2:3], v7, off offset:512
.LBB49_80:
	;; [unrolled: 9-line block ×13, first 2 shown]
	s_or_b64 exec, exec, s[2:3]
	s_load_dword s0, s[0:1], 0x40
	s_waitcnt lgkmcnt(0)
	s_bfe_u32 s0, s0, 0x10008
	s_cmp_eq_u32 s0, 0
	s_cbranch_scc1 .LBB49_153
; %bb.103:
	s_add_u32 s0, s22, -1
	s_addc_u32 s1, s23, -1
	s_lshr_b64 s[2:3], s[0:1], 1
	s_lshr_b32 s5, s1, 1
	s_mul_hi_u32 s3, s2, 0x49249249
	s_mul_i32 s4, s2, 0x49249249
	s_mul_i32 s9, s5, 0x24924925
	s_mul_hi_u32 s2, s2, 0x24924925
	s_mul_hi_u32 s8, s5, 0x24924925
	s_add_u32 s2, s9, s2
	s_addc_u32 s8, s8, 0
	s_add_u32 s2, s4, s2
	s_addc_u32 s2, s3, 0
	;; [unrolled: 2-line block ×3, first 2 shown]
	s_mul_hi_u32 s4, s5, 0x49249249
	s_mul_i32 s5, s5, 0x49249249
	s_add_u32 s2, s5, s2
	s_addc_u32 s3, s4, s3
	v_mov_b32_e32 v1, v11
	s_lshr_b64 s[2:3], s[2:3], 1
	v_cmp_eq_u64_e32 vcc, s[2:3], v[0:1]
	s_and_saveexec_b64 s[2:3], vcc
	s_cbranch_execz .LBB49_153
; %bb.104:
	v_mul_hi_u32_u24_e32 v1, 14, v0
	v_mul_u32_u24_e32 v0, 14, v0
	v_mov_b32_e32 v2, s1
	v_sub_co_u32_e32 v0, vcc, s0, v0
	s_nop 1
	v_subb_co_u32_e32 v1, vcc, v2, v1, vcc
	v_cmp_lt_i64_e32 vcc, 6, v[0:1]
	s_and_saveexec_b64 s[0:1], vcc
	s_xor_b64 s[0:1], exec, s[0:1]
	s_cbranch_execz .LBB49_130
; %bb.105:
	v_cmp_lt_i64_e32 vcc, 9, v[0:1]
	s_and_saveexec_b64 s[2:3], vcc
	s_xor_b64 s[2:3], exec, s[2:3]
	s_cbranch_execz .LBB49_119
; %bb.106:
	;; [unrolled: 5-line block ×4, first 2 shown]
	v_mov_b32_e32 v0, 0
	global_store_short v0, v4, s[6:7]
                                        ; implicit-def: $vgpr19
.LBB49_109:
	s_andn2_saveexec_b64 s[8:9], s[8:9]
	s_cbranch_execz .LBB49_111
; %bb.110:
	v_mov_b32_e32 v0, 0
	global_store_short v0, v19, s[6:7]
.LBB49_111:
	s_or_b64 exec, exec, s[8:9]
                                        ; implicit-def: $vgpr13
                                        ; implicit-def: $vgpr0_vgpr1
                                        ; implicit-def: $vgpr18
.LBB49_112:
	s_andn2_saveexec_b64 s[4:5], s[4:5]
	s_cbranch_execz .LBB49_118
; %bb.113:
	v_cmp_lt_i64_e32 vcc, 10, v[0:1]
	s_and_saveexec_b64 s[8:9], vcc
	s_xor_b64 s[8:9], exec, s[8:9]
	s_cbranch_execz .LBB49_115
; %bb.114:
	v_mov_b32_e32 v0, 0
	global_store_short v0, v18, s[6:7]
                                        ; implicit-def: $vgpr13
.LBB49_115:
	s_andn2_saveexec_b64 s[8:9], s[8:9]
	s_cbranch_execz .LBB49_117
; %bb.116:
	v_mov_b32_e32 v0, 0
	global_store_short v0, v13, s[6:7]
.LBB49_117:
	s_or_b64 exec, exec, s[8:9]
.LBB49_118:
	s_or_b64 exec, exec, s[4:5]
                                        ; implicit-def: $vgpr16
                                        ; implicit-def: $vgpr0_vgpr1
                                        ; implicit-def: $vgpr14
                                        ; implicit-def: $vgpr17
.LBB49_119:
	s_andn2_saveexec_b64 s[2:3], s[2:3]
	s_cbranch_execz .LBB49_129
; %bb.120:
	v_cmp_lt_i64_e32 vcc, 7, v[0:1]
	s_and_saveexec_b64 s[4:5], vcc
	s_xor_b64 s[4:5], exec, s[4:5]
	s_cbranch_execz .LBB49_126
; %bb.121:
	v_cmp_lt_i64_e32 vcc, 8, v[0:1]
	s_and_saveexec_b64 s[8:9], vcc
	s_xor_b64 s[8:9], exec, s[8:9]
	s_cbranch_execz .LBB49_123
; %bb.122:
	v_mov_b32_e32 v0, 0
	global_store_short v0, v17, s[6:7]
                                        ; implicit-def: $vgpr14
.LBB49_123:
	s_andn2_saveexec_b64 s[8:9], s[8:9]
	s_cbranch_execz .LBB49_125
; %bb.124:
	v_mov_b32_e32 v0, 0
	global_store_short v0, v14, s[6:7]
.LBB49_125:
	s_or_b64 exec, exec, s[8:9]
                                        ; implicit-def: $vgpr16
.LBB49_126:
	s_andn2_saveexec_b64 s[4:5], s[4:5]
	s_cbranch_execz .LBB49_128
; %bb.127:
	v_mov_b32_e32 v0, 0
	global_store_short v0, v16, s[6:7]
.LBB49_128:
	s_or_b64 exec, exec, s[4:5]
.LBB49_129:
	s_or_b64 exec, exec, s[2:3]
                                        ; implicit-def: $vgpr0_vgpr1
                                        ; implicit-def: $vgpr12
                                        ; implicit-def: $vgpr5
                                        ; implicit-def: $vgpr7
                                        ; implicit-def: $vgpr6
                                        ; implicit-def: $vgpr9
                                        ; implicit-def: $vgpr8
                                        ; implicit-def: $vgpr15
.LBB49_130:
	s_andn2_saveexec_b64 s[0:1], s[0:1]
	s_cbranch_execz .LBB49_153
; %bb.131:
	v_cmp_lt_i64_e32 vcc, 3, v[0:1]
	s_and_saveexec_b64 s[0:1], vcc
	s_xor_b64 s[0:1], exec, s[0:1]
	s_cbranch_execz .LBB49_141
; %bb.132:
	v_cmp_lt_i64_e32 vcc, 4, v[0:1]
	s_and_saveexec_b64 s[2:3], vcc
	s_xor_b64 s[2:3], exec, s[2:3]
	;; [unrolled: 5-line block ×3, first 2 shown]
	s_cbranch_execz .LBB49_135
; %bb.134:
	v_mov_b32_e32 v0, 0
	global_store_short v0, v15, s[6:7]
                                        ; implicit-def: $vgpr9
.LBB49_135:
	s_andn2_saveexec_b64 s[4:5], s[4:5]
	s_cbranch_execz .LBB49_137
; %bb.136:
	v_mov_b32_e32 v0, 0
	global_store_short v0, v9, s[6:7]
.LBB49_137:
	s_or_b64 exec, exec, s[4:5]
                                        ; implicit-def: $vgpr12
.LBB49_138:
	s_andn2_saveexec_b64 s[2:3], s[2:3]
	s_cbranch_execz .LBB49_140
; %bb.139:
	v_mov_b32_e32 v0, 0
	global_store_short v0, v12, s[6:7]
.LBB49_140:
	s_or_b64 exec, exec, s[2:3]
                                        ; implicit-def: $vgpr0_vgpr1
                                        ; implicit-def: $vgpr5
                                        ; implicit-def: $vgpr7
                                        ; implicit-def: $vgpr6
                                        ; implicit-def: $vgpr8
.LBB49_141:
	s_andn2_saveexec_b64 s[0:1], s[0:1]
	s_cbranch_execz .LBB49_153
; %bb.142:
	v_cmp_lt_i64_e32 vcc, 1, v[0:1]
	s_and_saveexec_b64 s[0:1], vcc
	s_xor_b64 s[0:1], exec, s[0:1]
	s_cbranch_execz .LBB49_148
; %bb.143:
	v_cmp_lt_i64_e32 vcc, 2, v[0:1]
	s_and_saveexec_b64 s[2:3], vcc
	s_xor_b64 s[2:3], exec, s[2:3]
	s_cbranch_execz .LBB49_145
; %bb.144:
	v_mov_b32_e32 v0, 0
	global_store_short v0, v8, s[6:7]
                                        ; implicit-def: $vgpr7
.LBB49_145:
	s_andn2_saveexec_b64 s[2:3], s[2:3]
	s_cbranch_execz .LBB49_147
; %bb.146:
	v_mov_b32_e32 v0, 0
	global_store_short v0, v7, s[6:7]
.LBB49_147:
	s_or_b64 exec, exec, s[2:3]
                                        ; implicit-def: $vgpr5
                                        ; implicit-def: $vgpr0_vgpr1
                                        ; implicit-def: $vgpr6
.LBB49_148:
	s_andn2_saveexec_b64 s[0:1], s[0:1]
	s_cbranch_execz .LBB49_153
; %bb.149:
	v_cmp_ne_u64_e32 vcc, 1, v[0:1]
	s_and_saveexec_b64 s[0:1], vcc
	s_xor_b64 s[0:1], exec, s[0:1]
	s_cbranch_execz .LBB49_151
; %bb.150:
	v_mov_b32_e32 v0, 0
	global_store_short v0, v6, s[6:7]
                                        ; implicit-def: $vgpr5
.LBB49_151:
	s_andn2_saveexec_b64 s[0:1], s[0:1]
	s_cbranch_execz .LBB49_153
; %bb.152:
	v_mov_b32_e32 v0, 0
	global_store_short v0, v5, s[6:7]
.LBB49_153:
	s_endpgm
	.section	.rodata,"a",@progbits
	.p2align	6, 0x0
	.amdhsa_kernel _ZN7rocprim17ROCPRIM_304000_NS6detail20lookback_scan_kernelILNS1_25lookback_scan_determinismE0ELb0ENS1_19wrapped_scan_configINS0_14default_configEsEEPKsPsSt4plusIsEssNS1_19lookback_scan_stateIsLb0ELb1EEEEEvT2_T3_mT5_T4_T7_jPT6_SK_bb
		.amdhsa_group_segment_fixed_size 3584
		.amdhsa_private_segment_fixed_size 0
		.amdhsa_kernarg_size 68
		.amdhsa_user_sgpr_count 2
		.amdhsa_user_sgpr_dispatch_ptr 0
		.amdhsa_user_sgpr_queue_ptr 0
		.amdhsa_user_sgpr_kernarg_segment_ptr 1
		.amdhsa_user_sgpr_dispatch_id 0
		.amdhsa_user_sgpr_kernarg_preload_length 0
		.amdhsa_user_sgpr_kernarg_preload_offset 0
		.amdhsa_user_sgpr_private_segment_size 0
		.amdhsa_uses_dynamic_stack 0
		.amdhsa_enable_private_segment 0
		.amdhsa_system_sgpr_workgroup_id_x 1
		.amdhsa_system_sgpr_workgroup_id_y 0
		.amdhsa_system_sgpr_workgroup_id_z 0
		.amdhsa_system_sgpr_workgroup_info 0
		.amdhsa_system_vgpr_workitem_id 0
		.amdhsa_next_free_vgpr 41
		.amdhsa_next_free_sgpr 24
		.amdhsa_accum_offset 44
		.amdhsa_reserve_vcc 1
		.amdhsa_float_round_mode_32 0
		.amdhsa_float_round_mode_16_64 0
		.amdhsa_float_denorm_mode_32 3
		.amdhsa_float_denorm_mode_16_64 3
		.amdhsa_dx10_clamp 1
		.amdhsa_ieee_mode 1
		.amdhsa_fp16_overflow 0
		.amdhsa_tg_split 0
		.amdhsa_exception_fp_ieee_invalid_op 0
		.amdhsa_exception_fp_denorm_src 0
		.amdhsa_exception_fp_ieee_div_zero 0
		.amdhsa_exception_fp_ieee_overflow 0
		.amdhsa_exception_fp_ieee_underflow 0
		.amdhsa_exception_fp_ieee_inexact 0
		.amdhsa_exception_int_div_zero 0
	.end_amdhsa_kernel
	.section	.text._ZN7rocprim17ROCPRIM_304000_NS6detail20lookback_scan_kernelILNS1_25lookback_scan_determinismE0ELb0ENS1_19wrapped_scan_configINS0_14default_configEsEEPKsPsSt4plusIsEssNS1_19lookback_scan_stateIsLb0ELb1EEEEEvT2_T3_mT5_T4_T7_jPT6_SK_bb,"axG",@progbits,_ZN7rocprim17ROCPRIM_304000_NS6detail20lookback_scan_kernelILNS1_25lookback_scan_determinismE0ELb0ENS1_19wrapped_scan_configINS0_14default_configEsEEPKsPsSt4plusIsEssNS1_19lookback_scan_stateIsLb0ELb1EEEEEvT2_T3_mT5_T4_T7_jPT6_SK_bb,comdat
.Lfunc_end49:
	.size	_ZN7rocprim17ROCPRIM_304000_NS6detail20lookback_scan_kernelILNS1_25lookback_scan_determinismE0ELb0ENS1_19wrapped_scan_configINS0_14default_configEsEEPKsPsSt4plusIsEssNS1_19lookback_scan_stateIsLb0ELb1EEEEEvT2_T3_mT5_T4_T7_jPT6_SK_bb, .Lfunc_end49-_ZN7rocprim17ROCPRIM_304000_NS6detail20lookback_scan_kernelILNS1_25lookback_scan_determinismE0ELb0ENS1_19wrapped_scan_configINS0_14default_configEsEEPKsPsSt4plusIsEssNS1_19lookback_scan_stateIsLb0ELb1EEEEEvT2_T3_mT5_T4_T7_jPT6_SK_bb
                                        ; -- End function
	.set _ZN7rocprim17ROCPRIM_304000_NS6detail20lookback_scan_kernelILNS1_25lookback_scan_determinismE0ELb0ENS1_19wrapped_scan_configINS0_14default_configEsEEPKsPsSt4plusIsEssNS1_19lookback_scan_stateIsLb0ELb1EEEEEvT2_T3_mT5_T4_T7_jPT6_SK_bb.num_vgpr, 41
	.set _ZN7rocprim17ROCPRIM_304000_NS6detail20lookback_scan_kernelILNS1_25lookback_scan_determinismE0ELb0ENS1_19wrapped_scan_configINS0_14default_configEsEEPKsPsSt4plusIsEssNS1_19lookback_scan_stateIsLb0ELb1EEEEEvT2_T3_mT5_T4_T7_jPT6_SK_bb.num_agpr, 0
	.set _ZN7rocprim17ROCPRIM_304000_NS6detail20lookback_scan_kernelILNS1_25lookback_scan_determinismE0ELb0ENS1_19wrapped_scan_configINS0_14default_configEsEEPKsPsSt4plusIsEssNS1_19lookback_scan_stateIsLb0ELb1EEEEEvT2_T3_mT5_T4_T7_jPT6_SK_bb.numbered_sgpr, 24
	.set _ZN7rocprim17ROCPRIM_304000_NS6detail20lookback_scan_kernelILNS1_25lookback_scan_determinismE0ELb0ENS1_19wrapped_scan_configINS0_14default_configEsEEPKsPsSt4plusIsEssNS1_19lookback_scan_stateIsLb0ELb1EEEEEvT2_T3_mT5_T4_T7_jPT6_SK_bb.num_named_barrier, 0
	.set _ZN7rocprim17ROCPRIM_304000_NS6detail20lookback_scan_kernelILNS1_25lookback_scan_determinismE0ELb0ENS1_19wrapped_scan_configINS0_14default_configEsEEPKsPsSt4plusIsEssNS1_19lookback_scan_stateIsLb0ELb1EEEEEvT2_T3_mT5_T4_T7_jPT6_SK_bb.private_seg_size, 0
	.set _ZN7rocprim17ROCPRIM_304000_NS6detail20lookback_scan_kernelILNS1_25lookback_scan_determinismE0ELb0ENS1_19wrapped_scan_configINS0_14default_configEsEEPKsPsSt4plusIsEssNS1_19lookback_scan_stateIsLb0ELb1EEEEEvT2_T3_mT5_T4_T7_jPT6_SK_bb.uses_vcc, 1
	.set _ZN7rocprim17ROCPRIM_304000_NS6detail20lookback_scan_kernelILNS1_25lookback_scan_determinismE0ELb0ENS1_19wrapped_scan_configINS0_14default_configEsEEPKsPsSt4plusIsEssNS1_19lookback_scan_stateIsLb0ELb1EEEEEvT2_T3_mT5_T4_T7_jPT6_SK_bb.uses_flat_scratch, 0
	.set _ZN7rocprim17ROCPRIM_304000_NS6detail20lookback_scan_kernelILNS1_25lookback_scan_determinismE0ELb0ENS1_19wrapped_scan_configINS0_14default_configEsEEPKsPsSt4plusIsEssNS1_19lookback_scan_stateIsLb0ELb1EEEEEvT2_T3_mT5_T4_T7_jPT6_SK_bb.has_dyn_sized_stack, 0
	.set _ZN7rocprim17ROCPRIM_304000_NS6detail20lookback_scan_kernelILNS1_25lookback_scan_determinismE0ELb0ENS1_19wrapped_scan_configINS0_14default_configEsEEPKsPsSt4plusIsEssNS1_19lookback_scan_stateIsLb0ELb1EEEEEvT2_T3_mT5_T4_T7_jPT6_SK_bb.has_recursion, 0
	.set _ZN7rocprim17ROCPRIM_304000_NS6detail20lookback_scan_kernelILNS1_25lookback_scan_determinismE0ELb0ENS1_19wrapped_scan_configINS0_14default_configEsEEPKsPsSt4plusIsEssNS1_19lookback_scan_stateIsLb0ELb1EEEEEvT2_T3_mT5_T4_T7_jPT6_SK_bb.has_indirect_call, 0
	.section	.AMDGPU.csdata,"",@progbits
; Kernel info:
; codeLenInByte = 5728
; TotalNumSgprs: 30
; NumVgprs: 41
; NumAgprs: 0
; TotalNumVgprs: 41
; ScratchSize: 0
; MemoryBound: 0
; FloatMode: 240
; IeeeMode: 1
; LDSByteSize: 3584 bytes/workgroup (compile time only)
; SGPRBlocks: 3
; VGPRBlocks: 5
; NumSGPRsForWavesPerEU: 30
; NumVGPRsForWavesPerEU: 41
; AccumOffset: 44
; Occupancy: 8
; WaveLimiterHint : 1
; COMPUTE_PGM_RSRC2:SCRATCH_EN: 0
; COMPUTE_PGM_RSRC2:USER_SGPR: 2
; COMPUTE_PGM_RSRC2:TRAP_HANDLER: 0
; COMPUTE_PGM_RSRC2:TGID_X_EN: 1
; COMPUTE_PGM_RSRC2:TGID_Y_EN: 0
; COMPUTE_PGM_RSRC2:TGID_Z_EN: 0
; COMPUTE_PGM_RSRC2:TIDIG_COMP_CNT: 0
; COMPUTE_PGM_RSRC3_GFX90A:ACCUM_OFFSET: 10
; COMPUTE_PGM_RSRC3_GFX90A:TG_SPLIT: 0
	.section	.text._ZN7rocprim17ROCPRIM_304000_NS6detail16transform_kernelINS1_24wrapped_transform_configINS0_14default_configEsEEsPsS6_NS0_8identityIsEEEEvT1_mT2_T3_,"axG",@progbits,_ZN7rocprim17ROCPRIM_304000_NS6detail16transform_kernelINS1_24wrapped_transform_configINS0_14default_configEsEEsPsS6_NS0_8identityIsEEEEvT1_mT2_T3_,comdat
	.protected	_ZN7rocprim17ROCPRIM_304000_NS6detail16transform_kernelINS1_24wrapped_transform_configINS0_14default_configEsEEsPsS6_NS0_8identityIsEEEEvT1_mT2_T3_ ; -- Begin function _ZN7rocprim17ROCPRIM_304000_NS6detail16transform_kernelINS1_24wrapped_transform_configINS0_14default_configEsEEsPsS6_NS0_8identityIsEEEEvT1_mT2_T3_
	.globl	_ZN7rocprim17ROCPRIM_304000_NS6detail16transform_kernelINS1_24wrapped_transform_configINS0_14default_configEsEEsPsS6_NS0_8identityIsEEEEvT1_mT2_T3_
	.p2align	8
	.type	_ZN7rocprim17ROCPRIM_304000_NS6detail16transform_kernelINS1_24wrapped_transform_configINS0_14default_configEsEEsPsS6_NS0_8identityIsEEEEvT1_mT2_T3_,@function
_ZN7rocprim17ROCPRIM_304000_NS6detail16transform_kernelINS1_24wrapped_transform_configINS0_14default_configEsEEsPsS6_NS0_8identityIsEEEEvT1_mT2_T3_: ; @_ZN7rocprim17ROCPRIM_304000_NS6detail16transform_kernelINS1_24wrapped_transform_configINS0_14default_configEsEEsPsS6_NS0_8identityIsEEEEvT1_mT2_T3_
; %bb.0:
	s_load_dword s3, s[0:1], 0x20
	s_load_dwordx4 s[4:7], s[0:1], 0x0
	s_load_dwordx2 s[8:9], s[0:1], 0x10
	s_lshl_b32 s0, s2, 9
	s_mov_b32 s1, 0
	s_waitcnt lgkmcnt(0)
	s_add_i32 s3, s3, -1
	s_lshl_b64 s[10:11], s[0:1], 1
	s_add_u32 s4, s4, s10
	s_addc_u32 s5, s5, s11
	v_mov_b32_e32 v3, 0
	v_lshlrev_b32_e32 v2, 1, v0
	s_cmp_lg_u32 s2, s3
	v_lshl_add_u64 v[6:7], s[4:5], 0, v[2:3]
	s_cbranch_scc0 .LBB50_2
; %bb.1:
	global_load_ushort v3, v[6:7], off
	global_load_ushort v4, v[6:7], off offset:256
	global_load_ushort v5, v[6:7], off offset:512
	;; [unrolled: 1-line block ×3, first 2 shown]
	s_add_u32 s4, s8, s10
	s_addc_u32 s5, s9, s11
	s_mov_b64 s[12:13], -1
	s_waitcnt vmcnt(3)
	global_store_short v2, v3, s[4:5]
	s_waitcnt vmcnt(3)
	global_store_short v2, v4, s[4:5] offset:256
	s_waitcnt vmcnt(3)
	global_store_short v2, v5, s[4:5] offset:512
	s_cbranch_execz .LBB50_3
	s_branch .LBB50_17
.LBB50_2:
	s_mov_b64 s[12:13], 0
                                        ; implicit-def: $vgpr1
.LBB50_3:
	s_sub_i32 s6, s6, s0
	v_mov_b32_e32 v4, 0
	v_cmp_gt_u32_e32 vcc, s6, v0
	v_mov_b32_e32 v5, v4
	s_and_saveexec_b64 s[0:1], vcc
	s_cbranch_execz .LBB50_5
; %bb.4:
	global_load_ushort v1, v[6:7], off
	v_mov_b32_e32 v9, v4
	s_waitcnt vmcnt(0)
	v_and_b32_e32 v8, 0xffff, v1
	v_mov_b64_e32 v[4:5], v[8:9]
.LBB50_5:
	s_or_b64 exec, exec, s[0:1]
	s_waitcnt vmcnt(3)
	v_or_b32_e32 v1, 0x80, v0
	v_cmp_gt_u32_e64 s[0:1], s6, v1
	s_and_saveexec_b64 s[2:3], s[0:1]
	s_cbranch_execz .LBB50_7
; %bb.6:
	global_load_ushort v1, v[6:7], off offset:256
	s_mov_b32 s4, 0x5040100
	s_waitcnt vmcnt(0)
	v_perm_b32 v4, v1, v4, s4
.LBB50_7:
	s_or_b64 exec, exec, s[2:3]
	v_or_b32_e32 v1, 0x100, v0
	v_cmp_gt_u32_e64 s[2:3], s6, v1
	s_and_saveexec_b64 s[4:5], s[2:3]
	s_cbranch_execz .LBB50_9
; %bb.8:
	global_load_ushort v1, v[6:7], off offset:512
	s_mov_b32 s7, 0xffff
	s_waitcnt vmcnt(0)
	v_bfi_b32 v5, s7, v1, v5
.LBB50_9:
	s_or_b64 exec, exec, s[4:5]
	v_or_b32_e32 v0, 0x180, v0
	v_cmp_gt_u32_e64 s[4:5], s6, v0
	s_and_saveexec_b64 s[6:7], s[4:5]
	s_cbranch_execz .LBB50_11
; %bb.10:
	global_load_ushort v0, v[6:7], off offset:768
	s_mov_b32 s14, 0x5040100
	s_waitcnt vmcnt(0)
	v_perm_b32 v5, v0, v5, s14
.LBB50_11:
	s_or_b64 exec, exec, s[6:7]
	s_add_u32 s6, s8, s10
	v_mov_b32_e32 v3, 0
	s_addc_u32 s7, s9, s11
	v_cndmask_b32_sdwa v6, v3, v4, vcc dst_sel:DWORD dst_unused:UNUSED_PAD src0_sel:DWORD src1_sel:WORD_0
	v_lshl_add_u64 v[0:1], s[6:7], 0, v[2:3]
	s_and_saveexec_b64 s[6:7], vcc
	s_cbranch_execnz .LBB50_20
; %bb.12:
	s_or_b64 exec, exec, s[6:7]
	v_cndmask_b32_e64 v3, v6, v4, s[0:1]
	s_and_saveexec_b64 s[6:7], s[0:1]
	s_cbranch_execnz .LBB50_21
.LBB50_13:
	s_or_b64 exec, exec, s[6:7]
	s_and_saveexec_b64 s[0:1], s[2:3]
	s_cbranch_execnz .LBB50_22
.LBB50_14:
	s_or_b64 exec, exec, s[0:1]
                                        ; implicit-def: $vgpr1
	s_and_saveexec_b64 s[0:1], s[4:5]
.LBB50_15:
	v_cndmask_b32_e64 v0, 0, v5, s[4:5]
	v_lshrrev_b32_e32 v1, 16, v0
	s_or_b64 s[12:13], s[12:13], exec
.LBB50_16:
	s_or_b64 exec, exec, s[0:1]
.LBB50_17:
	s_and_saveexec_b64 s[0:1], s[12:13]
	s_cbranch_execnz .LBB50_19
; %bb.18:
	s_endpgm
.LBB50_19:
	s_add_u32 s0, s8, s10
	s_addc_u32 s1, s9, s11
	s_waitcnt vmcnt(3)
	global_store_short v2, v1, s[0:1] offset:768
	s_endpgm
.LBB50_20:
	global_store_short v[0:1], v6, off
	s_or_b64 exec, exec, s[6:7]
	v_cndmask_b32_e64 v3, v6, v4, s[0:1]
	s_and_saveexec_b64 s[6:7], s[0:1]
	s_cbranch_execz .LBB50_13
.LBB50_21:
	global_store_short_d16_hi v[0:1], v3, off offset:256
	s_or_b64 exec, exec, s[6:7]
	s_and_saveexec_b64 s[0:1], s[2:3]
	s_cbranch_execz .LBB50_14
.LBB50_22:
	v_cndmask_b32_e64 v3, 0, v5, s[2:3]
	global_store_short v[0:1], v3, off offset:512
	s_or_b64 exec, exec, s[0:1]
                                        ; implicit-def: $vgpr1
	s_and_saveexec_b64 s[0:1], s[4:5]
	s_cbranch_execnz .LBB50_15
	s_branch .LBB50_16
	.section	.rodata,"a",@progbits
	.p2align	6, 0x0
	.amdhsa_kernel _ZN7rocprim17ROCPRIM_304000_NS6detail16transform_kernelINS1_24wrapped_transform_configINS0_14default_configEsEEsPsS6_NS0_8identityIsEEEEvT1_mT2_T3_
		.amdhsa_group_segment_fixed_size 0
		.amdhsa_private_segment_fixed_size 0
		.amdhsa_kernarg_size 288
		.amdhsa_user_sgpr_count 2
		.amdhsa_user_sgpr_dispatch_ptr 0
		.amdhsa_user_sgpr_queue_ptr 0
		.amdhsa_user_sgpr_kernarg_segment_ptr 1
		.amdhsa_user_sgpr_dispatch_id 0
		.amdhsa_user_sgpr_kernarg_preload_length 0
		.amdhsa_user_sgpr_kernarg_preload_offset 0
		.amdhsa_user_sgpr_private_segment_size 0
		.amdhsa_uses_dynamic_stack 0
		.amdhsa_enable_private_segment 0
		.amdhsa_system_sgpr_workgroup_id_x 1
		.amdhsa_system_sgpr_workgroup_id_y 0
		.amdhsa_system_sgpr_workgroup_id_z 0
		.amdhsa_system_sgpr_workgroup_info 0
		.amdhsa_system_vgpr_workitem_id 0
		.amdhsa_next_free_vgpr 10
		.amdhsa_next_free_sgpr 15
		.amdhsa_accum_offset 12
		.amdhsa_reserve_vcc 1
		.amdhsa_float_round_mode_32 0
		.amdhsa_float_round_mode_16_64 0
		.amdhsa_float_denorm_mode_32 3
		.amdhsa_float_denorm_mode_16_64 3
		.amdhsa_dx10_clamp 1
		.amdhsa_ieee_mode 1
		.amdhsa_fp16_overflow 0
		.amdhsa_tg_split 0
		.amdhsa_exception_fp_ieee_invalid_op 0
		.amdhsa_exception_fp_denorm_src 0
		.amdhsa_exception_fp_ieee_div_zero 0
		.amdhsa_exception_fp_ieee_overflow 0
		.amdhsa_exception_fp_ieee_underflow 0
		.amdhsa_exception_fp_ieee_inexact 0
		.amdhsa_exception_int_div_zero 0
	.end_amdhsa_kernel
	.section	.text._ZN7rocprim17ROCPRIM_304000_NS6detail16transform_kernelINS1_24wrapped_transform_configINS0_14default_configEsEEsPsS6_NS0_8identityIsEEEEvT1_mT2_T3_,"axG",@progbits,_ZN7rocprim17ROCPRIM_304000_NS6detail16transform_kernelINS1_24wrapped_transform_configINS0_14default_configEsEEsPsS6_NS0_8identityIsEEEEvT1_mT2_T3_,comdat
.Lfunc_end50:
	.size	_ZN7rocprim17ROCPRIM_304000_NS6detail16transform_kernelINS1_24wrapped_transform_configINS0_14default_configEsEEsPsS6_NS0_8identityIsEEEEvT1_mT2_T3_, .Lfunc_end50-_ZN7rocprim17ROCPRIM_304000_NS6detail16transform_kernelINS1_24wrapped_transform_configINS0_14default_configEsEEsPsS6_NS0_8identityIsEEEEvT1_mT2_T3_
                                        ; -- End function
	.set _ZN7rocprim17ROCPRIM_304000_NS6detail16transform_kernelINS1_24wrapped_transform_configINS0_14default_configEsEEsPsS6_NS0_8identityIsEEEEvT1_mT2_T3_.num_vgpr, 10
	.set _ZN7rocprim17ROCPRIM_304000_NS6detail16transform_kernelINS1_24wrapped_transform_configINS0_14default_configEsEEsPsS6_NS0_8identityIsEEEEvT1_mT2_T3_.num_agpr, 0
	.set _ZN7rocprim17ROCPRIM_304000_NS6detail16transform_kernelINS1_24wrapped_transform_configINS0_14default_configEsEEsPsS6_NS0_8identityIsEEEEvT1_mT2_T3_.numbered_sgpr, 15
	.set _ZN7rocprim17ROCPRIM_304000_NS6detail16transform_kernelINS1_24wrapped_transform_configINS0_14default_configEsEEsPsS6_NS0_8identityIsEEEEvT1_mT2_T3_.num_named_barrier, 0
	.set _ZN7rocprim17ROCPRIM_304000_NS6detail16transform_kernelINS1_24wrapped_transform_configINS0_14default_configEsEEsPsS6_NS0_8identityIsEEEEvT1_mT2_T3_.private_seg_size, 0
	.set _ZN7rocprim17ROCPRIM_304000_NS6detail16transform_kernelINS1_24wrapped_transform_configINS0_14default_configEsEEsPsS6_NS0_8identityIsEEEEvT1_mT2_T3_.uses_vcc, 1
	.set _ZN7rocprim17ROCPRIM_304000_NS6detail16transform_kernelINS1_24wrapped_transform_configINS0_14default_configEsEEsPsS6_NS0_8identityIsEEEEvT1_mT2_T3_.uses_flat_scratch, 0
	.set _ZN7rocprim17ROCPRIM_304000_NS6detail16transform_kernelINS1_24wrapped_transform_configINS0_14default_configEsEEsPsS6_NS0_8identityIsEEEEvT1_mT2_T3_.has_dyn_sized_stack, 0
	.set _ZN7rocprim17ROCPRIM_304000_NS6detail16transform_kernelINS1_24wrapped_transform_configINS0_14default_configEsEEsPsS6_NS0_8identityIsEEEEvT1_mT2_T3_.has_recursion, 0
	.set _ZN7rocprim17ROCPRIM_304000_NS6detail16transform_kernelINS1_24wrapped_transform_configINS0_14default_configEsEEsPsS6_NS0_8identityIsEEEEvT1_mT2_T3_.has_indirect_call, 0
	.section	.AMDGPU.csdata,"",@progbits
; Kernel info:
; codeLenInByte = 608
; TotalNumSgprs: 21
; NumVgprs: 10
; NumAgprs: 0
; TotalNumVgprs: 10
; ScratchSize: 0
; MemoryBound: 0
; FloatMode: 240
; IeeeMode: 1
; LDSByteSize: 0 bytes/workgroup (compile time only)
; SGPRBlocks: 2
; VGPRBlocks: 1
; NumSGPRsForWavesPerEU: 21
; NumVGPRsForWavesPerEU: 10
; AccumOffset: 12
; Occupancy: 8
; WaveLimiterHint : 1
; COMPUTE_PGM_RSRC2:SCRATCH_EN: 0
; COMPUTE_PGM_RSRC2:USER_SGPR: 2
; COMPUTE_PGM_RSRC2:TRAP_HANDLER: 0
; COMPUTE_PGM_RSRC2:TGID_X_EN: 1
; COMPUTE_PGM_RSRC2:TGID_Y_EN: 0
; COMPUTE_PGM_RSRC2:TGID_Z_EN: 0
; COMPUTE_PGM_RSRC2:TIDIG_COMP_CNT: 0
; COMPUTE_PGM_RSRC3_GFX90A:ACCUM_OFFSET: 2
; COMPUTE_PGM_RSRC3_GFX90A:TG_SPLIT: 0
	.section	.text._ZN7rocprim17ROCPRIM_304000_NS6detail18single_scan_kernelILb0ENS1_19wrapped_scan_configINS0_14default_configEsEEPKsPsSt4plusIsEssEEvT1_mT4_T2_T3_,"axG",@progbits,_ZN7rocprim17ROCPRIM_304000_NS6detail18single_scan_kernelILb0ENS1_19wrapped_scan_configINS0_14default_configEsEEPKsPsSt4plusIsEssEEvT1_mT4_T2_T3_,comdat
	.protected	_ZN7rocprim17ROCPRIM_304000_NS6detail18single_scan_kernelILb0ENS1_19wrapped_scan_configINS0_14default_configEsEEPKsPsSt4plusIsEssEEvT1_mT4_T2_T3_ ; -- Begin function _ZN7rocprim17ROCPRIM_304000_NS6detail18single_scan_kernelILb0ENS1_19wrapped_scan_configINS0_14default_configEsEEPKsPsSt4plusIsEssEEvT1_mT4_T2_T3_
	.globl	_ZN7rocprim17ROCPRIM_304000_NS6detail18single_scan_kernelILb0ENS1_19wrapped_scan_configINS0_14default_configEsEEPKsPsSt4plusIsEssEEvT1_mT4_T2_T3_
	.p2align	8
	.type	_ZN7rocprim17ROCPRIM_304000_NS6detail18single_scan_kernelILb0ENS1_19wrapped_scan_configINS0_14default_configEsEEPKsPsSt4plusIsEssEEvT1_mT4_T2_T3_,@function
_ZN7rocprim17ROCPRIM_304000_NS6detail18single_scan_kernelILb0ENS1_19wrapped_scan_configINS0_14default_configEsEEPKsPsSt4plusIsEssEEvT1_mT4_T2_T3_: ; @_ZN7rocprim17ROCPRIM_304000_NS6detail18single_scan_kernelILb0ENS1_19wrapped_scan_configINS0_14default_configEsEEPKsPsSt4plusIsEssEEvT1_mT4_T2_T3_
; %bb.0:
	s_load_dwordx4 s[24:27], s[0:1], 0x0
	v_mov_b32_e32 v11, 0
	v_lshlrev_b32_e32 v10, 1, v0
	s_waitcnt lgkmcnt(0)
	global_load_ushort v1, v11, s[24:25]
	v_lshl_add_u64 v[12:13], s[24:25], 0, v[10:11]
	v_cmp_gt_u32_e32 vcc, s26, v0
	s_waitcnt vmcnt(0)
	v_and_b32_e32 v2, 0xffff, v1
	v_lshl_or_b32 v2, v1, 16, v2
	v_mov_b32_e32 v3, v2
	v_mov_b32_e32 v4, v2
	;; [unrolled: 1-line block ×6, first 2 shown]
	s_and_saveexec_b64 s[2:3], vcc
	s_cbranch_execz .LBB51_2
; %bb.1:
	global_load_ushort v1, v[12:13], off
	s_mov_b32 s4, 0xffff
	v_mov_b32_e32 v15, v2
	v_mov_b32_e32 v16, v2
	v_mov_b32_e32 v17, v2
	v_mov_b32_e32 v18, v2
	v_mov_b32_e32 v19, v2
	v_mov_b32_e32 v20, v2
	s_waitcnt vmcnt(0)
	v_bfi_b32 v14, s4, v1, v2
	v_mov_b64_e32 v[2:3], v[14:15]
	v_mov_b64_e32 v[4:5], v[16:17]
	;; [unrolled: 1-line block ×4, first 2 shown]
.LBB51_2:
	s_or_b64 exec, exec, s[2:3]
	v_or_b32_e32 v9, 0x80, v0
	v_cmp_gt_u32_e64 s[2:3], s26, v9
	s_and_saveexec_b64 s[4:5], s[2:3]
	s_cbranch_execz .LBB51_4
; %bb.3:
	global_load_ushort v9, v[12:13], off offset:256
	s_mov_b32 s6, 0x5040100
	s_waitcnt vmcnt(0)
	v_perm_b32 v2, v9, v2, s6
.LBB51_4:
	s_or_b64 exec, exec, s[4:5]
	v_or_b32_e32 v9, 0x100, v0
	v_cmp_gt_u32_e64 s[4:5], s26, v9
	s_and_saveexec_b64 s[6:7], s[4:5]
	s_cbranch_execz .LBB51_6
; %bb.5:
	global_load_ushort v9, v[12:13], off offset:512
	s_mov_b32 s8, 0xffff
	s_waitcnt vmcnt(0)
	v_bfi_b32 v3, s8, v9, v3
.LBB51_6:
	s_or_b64 exec, exec, s[6:7]
	v_or_b32_e32 v9, 0x180, v0
	v_cmp_gt_u32_e64 s[6:7], s26, v9
	s_and_saveexec_b64 s[8:9], s[6:7]
	s_cbranch_execz .LBB51_8
; %bb.7:
	global_load_ushort v9, v[12:13], off offset:768
	s_mov_b32 s10, 0x5040100
	s_waitcnt vmcnt(0)
	v_perm_b32 v3, v9, v3, s10
.LBB51_8:
	s_or_b64 exec, exec, s[8:9]
	v_or_b32_e32 v9, 0x200, v0
	v_cmp_gt_u32_e64 s[8:9], s26, v9
	s_and_saveexec_b64 s[10:11], s[8:9]
	s_cbranch_execz .LBB51_10
; %bb.9:
	global_load_ushort v9, v[12:13], off offset:1024
	s_mov_b32 s12, 0xffff
	s_waitcnt vmcnt(0)
	v_bfi_b32 v4, s12, v9, v4
.LBB51_10:
	s_or_b64 exec, exec, s[10:11]
	v_or_b32_e32 v9, 0x280, v0
	v_cmp_gt_u32_e64 s[10:11], s26, v9
	s_and_saveexec_b64 s[12:13], s[10:11]
	s_cbranch_execz .LBB51_12
; %bb.11:
	global_load_ushort v9, v[12:13], off offset:1280
	s_mov_b32 s14, 0x5040100
	s_waitcnt vmcnt(0)
	v_perm_b32 v4, v9, v4, s14
.LBB51_12:
	s_or_b64 exec, exec, s[12:13]
	v_or_b32_e32 v9, 0x300, v0
	v_cmp_gt_u32_e64 s[12:13], s26, v9
	s_and_saveexec_b64 s[14:15], s[12:13]
	s_cbranch_execz .LBB51_14
; %bb.13:
	global_load_ushort v9, v[12:13], off offset:1536
	s_mov_b32 s16, 0xffff
	s_waitcnt vmcnt(0)
	v_bfi_b32 v5, s16, v9, v5
.LBB51_14:
	s_or_b64 exec, exec, s[14:15]
	v_or_b32_e32 v9, 0x380, v0
	v_cmp_gt_u32_e64 s[14:15], s26, v9
	s_and_saveexec_b64 s[16:17], s[14:15]
	s_cbranch_execz .LBB51_16
; %bb.15:
	global_load_ushort v9, v[12:13], off offset:1792
	s_mov_b32 s18, 0x5040100
	s_waitcnt vmcnt(0)
	v_perm_b32 v5, v9, v5, s18
.LBB51_16:
	s_or_b64 exec, exec, s[16:17]
	v_or_b32_e32 v9, 0x400, v0
	v_cmp_gt_u32_e64 s[16:17], s26, v9
	s_and_saveexec_b64 s[18:19], s[16:17]
	s_cbranch_execz .LBB51_18
; %bb.17:
	global_load_ushort v9, v[12:13], off offset:2048
	s_mov_b32 s20, 0xffff
	s_waitcnt vmcnt(0)
	v_bfi_b32 v6, s20, v9, v6
.LBB51_18:
	s_or_b64 exec, exec, s[18:19]
	v_or_b32_e32 v9, 0x480, v0
	v_cmp_gt_u32_e64 s[18:19], s26, v9
	s_and_saveexec_b64 s[20:21], s[18:19]
	s_cbranch_execz .LBB51_20
; %bb.19:
	global_load_ushort v9, v[12:13], off offset:2304
	s_mov_b32 s22, 0x5040100
	s_waitcnt vmcnt(0)
	v_perm_b32 v6, v9, v6, s22
.LBB51_20:
	s_or_b64 exec, exec, s[20:21]
	v_or_b32_e32 v9, 0x500, v0
	v_cmp_gt_u32_e64 s[20:21], s26, v9
	s_and_saveexec_b64 s[22:23], s[20:21]
	s_cbranch_execz .LBB51_22
; %bb.21:
	global_load_ushort v9, v[12:13], off offset:2560
	s_mov_b32 s24, 0xffff
	s_waitcnt vmcnt(0)
	v_bfi_b32 v7, s24, v9, v7
.LBB51_22:
	s_or_b64 exec, exec, s[22:23]
	v_or_b32_e32 v9, 0x580, v0
	v_cmp_gt_u32_e64 s[22:23], s26, v9
	s_and_saveexec_b64 s[24:25], s[22:23]
	s_cbranch_execz .LBB51_24
; %bb.23:
	global_load_ushort v9, v[12:13], off offset:2816
	s_mov_b32 s27, 0x5040100
	s_waitcnt vmcnt(0)
	v_perm_b32 v7, v9, v7, s27
.LBB51_24:
	s_or_b64 exec, exec, s[24:25]
	v_or_b32_e32 v9, 0x600, v0
	v_cmp_gt_u32_e64 s[24:25], s26, v9
	s_and_saveexec_b64 s[28:29], s[24:25]
	s_cbranch_execz .LBB51_26
; %bb.25:
	global_load_ushort v9, v[12:13], off offset:3072
	s_mov_b32 s27, 0xffff
	s_waitcnt vmcnt(0)
	v_bfi_b32 v8, s27, v9, v8
.LBB51_26:
	s_or_b64 exec, exec, s[28:29]
	v_or_b32_e32 v9, 0x680, v0
	v_cmp_gt_u32_e64 s[26:27], s26, v9
	s_and_saveexec_b64 s[28:29], s[26:27]
	s_cbranch_execz .LBB51_28
; %bb.27:
	global_load_ushort v9, v[12:13], off offset:3328
	s_mov_b32 s30, 0x5040100
	s_waitcnt vmcnt(0)
	v_perm_b32 v8, v9, v8, s30
.LBB51_28:
	s_or_b64 exec, exec, s[28:29]
	ds_write_b16 v10, v1
	ds_write_b16_d16_hi v10, v2 offset:256
	ds_write_b16 v10, v3 offset:512
	ds_write_b16_d16_hi v10, v3 offset:768
	ds_write_b16 v10, v4 offset:1024
	;; [unrolled: 2-line block ×6, first 2 shown]
	ds_write_b16_d16_hi v10, v8 offset:3328
	v_mad_u32_u24 v1, v0, 26, v10
	s_waitcnt lgkmcnt(0)
	s_barrier
	ds_read2_b32 v[6:7], v1 offset1:1
	ds_read2_b32 v[4:5], v1 offset0:2 offset1:3
	ds_read2_b32 v[2:3], v1 offset0:4 offset1:5
	ds_read_b32 v1, v1 offset:24
	s_waitcnt lgkmcnt(0)
	v_add_u16_sdwa v8, v6, v6 dst_sel:DWORD dst_unused:UNUSED_PAD src0_sel:WORD_1 src1_sel:DWORD
	v_add_u16_e32 v8, v8, v7
	v_add_u16_sdwa v8, v8, v7 dst_sel:DWORD dst_unused:UNUSED_PAD src0_sel:DWORD src1_sel:WORD_1
	v_add_u16_e32 v8, v8, v4
	v_add_u16_sdwa v8, v8, v4 dst_sel:DWORD dst_unused:UNUSED_PAD src0_sel:DWORD src1_sel:WORD_1
	;; [unrolled: 2-line block ×6, first 2 shown]
	v_mbcnt_lo_u32_b32 v8, -1, 0
	v_mbcnt_hi_u32_b32 v8, -1, v8
	v_and_b32_e32 v11, 15, v8
	v_mov_b32_dpp v12, v9 row_shr:1 row_mask:0xf bank_mask:0xf
	v_cmp_ne_u32_e64 s[28:29], 0, v11
	s_barrier
	s_nop 0
	v_cndmask_b32_e64 v12, 0, v12, s[28:29]
	v_add_u16_e32 v9, v12, v9
	v_cmp_lt_u32_e64 s[28:29], 1, v11
	s_nop 0
	v_mov_b32_dpp v12, v9 row_shr:2 row_mask:0xf bank_mask:0xf
	v_cndmask_b32_e64 v12, 0, v12, s[28:29]
	v_add_u16_e32 v9, v9, v12
	v_cmp_lt_u32_e64 s[28:29], 3, v11
	s_nop 0
	v_mov_b32_dpp v12, v9 row_shr:4 row_mask:0xf bank_mask:0xf
	;; [unrolled: 5-line block ×3, first 2 shown]
	v_cndmask_b32_e64 v11, 0, v12, s[28:29]
	v_add_u16_e32 v9, v9, v11
	v_and_b32_e32 v12, 16, v8
	v_cmp_ne_u32_e64 s[28:29], 0, v12
	v_mov_b32_dpp v11, v9 row_bcast:15 row_mask:0xf bank_mask:0xf
	v_lshrrev_b32_e32 v12, 6, v0
	v_cndmask_b32_e64 v11, 0, v11, s[28:29]
	v_add_u16_e32 v9, v9, v11
	v_cmp_lt_u32_e64 s[28:29], 31, v8
	s_nop 0
	v_mov_b32_dpp v11, v9 row_bcast:31 row_mask:0xf bank_mask:0xf
	v_cndmask_b32_e64 v11, 0, v11, s[28:29]
	v_add_u16_e32 v9, v9, v11
	v_or_b32_e32 v11, 63, v0
	v_cmp_eq_u32_e64 s[28:29], v0, v11
	s_and_saveexec_b64 s[30:31], s[28:29]
; %bb.29:
	v_lshlrev_b32_e32 v11, 1, v12
	ds_write_b16 v11, v9
; %bb.30:
	s_or_b64 exec, exec, s[30:31]
	v_cmp_gt_u32_e64 s[28:29], 2, v0
	s_waitcnt lgkmcnt(0)
	s_barrier
	s_and_saveexec_b64 s[30:31], s[28:29]
	s_cbranch_execz .LBB51_32
; %bb.31:
	ds_read_u16 v11, v10
	v_and_b32_e32 v13, 1, v8
	v_cmp_eq_u32_e64 s[28:29], 1, v13
	s_waitcnt lgkmcnt(0)
	v_and_b32_e32 v14, 0xffff, v11
	s_nop 1
	v_mov_b32_dpp v14, v14 row_shr:1 row_mask:0xf bank_mask:0xf
	v_cndmask_b32_e64 v13, 0, v14, s[28:29]
	v_add_u16_e32 v11, v13, v11
	ds_write_b16 v10, v11
.LBB51_32:
	s_or_b64 exec, exec, s[30:31]
	v_mul_u32_u24_e32 v11, 26, v0
	v_cmp_lt_u32_e64 s[28:29], 63, v0
	s_waitcnt lgkmcnt(0)
	s_barrier
                                        ; implicit-def: $vgpr13
	s_and_saveexec_b64 s[30:31], s[28:29]
	s_cbranch_execz .LBB51_34
; %bb.33:
	v_lshl_add_u32 v12, v12, 1, -2
	ds_read_u16 v13, v12
	s_waitcnt lgkmcnt(0)
	v_add_u16_e32 v9, v13, v9
.LBB51_34:
	s_or_b64 exec, exec, s[30:31]
	v_subrev_co_u32_e64 v12, s[28:29], 1, v8
	v_and_b32_e32 v14, 64, v8
	v_cmp_lt_i32_e64 s[30:31], v12, v14
	v_and_b32_e32 v9, 0xffff, v9
	v_add_u32_e32 v11, v10, v11
	v_cndmask_b32_e64 v8, v12, v8, s[30:31]
	v_lshlrev_b32_e32 v8, 2, v8
	ds_bpermute_b32 v8, v8, v9
	s_load_dwordx2 s[30:31], s[0:1], 0x18
	v_cmp_ne_u32_e64 s[0:1], 0, v0
	s_waitcnt lgkmcnt(0)
	s_barrier
	v_cndmask_b32_e64 v8, v8, v13, s[28:29]
	v_cndmask_b32_e64 v0, 0, v8, s[0:1]
	v_add_u16_e32 v0, v0, v6
	v_add_u16_sdwa v6, v0, v6 dst_sel:DWORD dst_unused:UNUSED_PAD src0_sel:DWORD src1_sel:WORD_1
	v_add_u16_e32 v8, v6, v7
	v_add_u16_sdwa v7, v8, v7 dst_sel:DWORD dst_unused:UNUSED_PAD src0_sel:DWORD src1_sel:WORD_1
	;; [unrolled: 2-line block ×5, first 2 shown]
	v_add_u16_e32 v14, v2, v3
	s_mov_b32 s0, 0x5040100
	v_add_u16_sdwa v3, v14, v3 dst_sel:DWORD dst_unused:UNUSED_PAD src0_sel:DWORD src1_sel:WORD_1
	v_perm_b32 v0, v6, v0, s0
	v_perm_b32 v6, v7, v8, s0
	v_add_u16_e32 v15, v3, v1
	ds_write2_b32 v11, v0, v6 offset1:1
	v_perm_b32 v0, v4, v9, s0
	v_perm_b32 v4, v5, v12, s0
	v_add_u16_sdwa v1, v15, v1 dst_sel:DWORD dst_unused:UNUSED_PAD src0_sel:DWORD src1_sel:WORD_1
	ds_write2_b32 v11, v0, v4 offset0:2 offset1:3
	v_perm_b32 v0, v2, v13, s0
	v_perm_b32 v2, v3, v14, s0
	ds_write2_b32 v11, v0, v2 offset0:4 offset1:5
	v_perm_b32 v0, v1, v15, s0
	ds_write_b32 v11, v0 offset:24
	s_waitcnt lgkmcnt(0)
	s_barrier
	ds_read_u16 v16, v10 offset:256
	ds_read_u16 v15, v10 offset:512
	;; [unrolled: 1-line block ×13, first 2 shown]
	v_mov_b32_e32 v11, 0
	v_lshl_add_u64 v[0:1], s[30:31], 0, v[10:11]
	s_and_saveexec_b64 s[0:1], vcc
	s_cbranch_execnz .LBB51_49
; %bb.35:
	s_or_b64 exec, exec, s[0:1]
	s_and_saveexec_b64 s[0:1], s[2:3]
	s_cbranch_execnz .LBB51_50
.LBB51_36:
	s_or_b64 exec, exec, s[0:1]
	s_and_saveexec_b64 s[0:1], s[4:5]
	s_cbranch_execnz .LBB51_51
.LBB51_37:
	s_or_b64 exec, exec, s[0:1]
	s_and_saveexec_b64 s[0:1], s[6:7]
	s_cbranch_execnz .LBB51_52
.LBB51_38:
	s_or_b64 exec, exec, s[0:1]
	s_and_saveexec_b64 s[0:1], s[8:9]
	s_cbranch_execnz .LBB51_53
.LBB51_39:
	s_or_b64 exec, exec, s[0:1]
	s_and_saveexec_b64 s[0:1], s[10:11]
	s_cbranch_execnz .LBB51_54
.LBB51_40:
	s_or_b64 exec, exec, s[0:1]
	s_and_saveexec_b64 s[0:1], s[12:13]
	s_cbranch_execnz .LBB51_55
.LBB51_41:
	s_or_b64 exec, exec, s[0:1]
	s_and_saveexec_b64 s[0:1], s[14:15]
	s_cbranch_execnz .LBB51_56
.LBB51_42:
	s_or_b64 exec, exec, s[0:1]
	s_and_saveexec_b64 s[0:1], s[16:17]
	s_cbranch_execnz .LBB51_57
.LBB51_43:
	s_or_b64 exec, exec, s[0:1]
	s_and_saveexec_b64 s[0:1], s[18:19]
	s_cbranch_execnz .LBB51_58
.LBB51_44:
	s_or_b64 exec, exec, s[0:1]
	s_and_saveexec_b64 s[0:1], s[20:21]
	s_cbranch_execnz .LBB51_59
.LBB51_45:
	s_or_b64 exec, exec, s[0:1]
	s_and_saveexec_b64 s[0:1], s[22:23]
	s_cbranch_execnz .LBB51_60
.LBB51_46:
	s_or_b64 exec, exec, s[0:1]
	s_and_saveexec_b64 s[0:1], s[24:25]
	s_cbranch_execnz .LBB51_61
.LBB51_47:
	s_or_b64 exec, exec, s[0:1]
	s_and_saveexec_b64 s[0:1], s[26:27]
	s_cbranch_execnz .LBB51_62
.LBB51_48:
	s_endpgm
.LBB51_49:
	ds_read_u16 v10, v10
	s_waitcnt lgkmcnt(0)
	global_store_short v[0:1], v10, off
	s_or_b64 exec, exec, s[0:1]
	s_and_saveexec_b64 s[0:1], s[2:3]
	s_cbranch_execz .LBB51_36
.LBB51_50:
	s_waitcnt lgkmcnt(12)
	global_store_short v[0:1], v16, off offset:256
	s_or_b64 exec, exec, s[0:1]
	s_and_saveexec_b64 s[0:1], s[4:5]
	s_cbranch_execz .LBB51_37
.LBB51_51:
	s_waitcnt lgkmcnt(11)
	global_store_short v[0:1], v15, off offset:512
	s_or_b64 exec, exec, s[0:1]
	s_and_saveexec_b64 s[0:1], s[6:7]
	s_cbranch_execz .LBB51_38
.LBB51_52:
	s_waitcnt lgkmcnt(10)
	global_store_short v[0:1], v14, off offset:768
	s_or_b64 exec, exec, s[0:1]
	s_and_saveexec_b64 s[0:1], s[8:9]
	s_cbranch_execz .LBB51_39
.LBB51_53:
	s_waitcnt lgkmcnt(9)
	global_store_short v[0:1], v13, off offset:1024
	s_or_b64 exec, exec, s[0:1]
	s_and_saveexec_b64 s[0:1], s[10:11]
	s_cbranch_execz .LBB51_40
.LBB51_54:
	s_waitcnt lgkmcnt(8)
	global_store_short v[0:1], v12, off offset:1280
	s_or_b64 exec, exec, s[0:1]
	s_and_saveexec_b64 s[0:1], s[12:13]
	s_cbranch_execz .LBB51_41
.LBB51_55:
	s_waitcnt lgkmcnt(7)
	global_store_short v[0:1], v9, off offset:1536
	s_or_b64 exec, exec, s[0:1]
	s_and_saveexec_b64 s[0:1], s[14:15]
	s_cbranch_execz .LBB51_42
.LBB51_56:
	s_waitcnt lgkmcnt(6)
	global_store_short v[0:1], v8, off offset:1792
	s_or_b64 exec, exec, s[0:1]
	s_and_saveexec_b64 s[0:1], s[16:17]
	s_cbranch_execz .LBB51_43
.LBB51_57:
	s_waitcnt lgkmcnt(5)
	global_store_short v[0:1], v7, off offset:2048
	s_or_b64 exec, exec, s[0:1]
	s_and_saveexec_b64 s[0:1], s[18:19]
	s_cbranch_execz .LBB51_44
.LBB51_58:
	s_waitcnt lgkmcnt(4)
	global_store_short v[0:1], v6, off offset:2304
	s_or_b64 exec, exec, s[0:1]
	s_and_saveexec_b64 s[0:1], s[20:21]
	s_cbranch_execz .LBB51_45
.LBB51_59:
	s_waitcnt lgkmcnt(3)
	global_store_short v[0:1], v5, off offset:2560
	s_or_b64 exec, exec, s[0:1]
	s_and_saveexec_b64 s[0:1], s[22:23]
	s_cbranch_execz .LBB51_46
.LBB51_60:
	s_waitcnt lgkmcnt(2)
	global_store_short v[0:1], v4, off offset:2816
	s_or_b64 exec, exec, s[0:1]
	s_and_saveexec_b64 s[0:1], s[24:25]
	s_cbranch_execz .LBB51_47
.LBB51_61:
	s_waitcnt lgkmcnt(1)
	global_store_short v[0:1], v3, off offset:3072
	s_or_b64 exec, exec, s[0:1]
	s_and_saveexec_b64 s[0:1], s[26:27]
	s_cbranch_execz .LBB51_48
.LBB51_62:
	s_waitcnt lgkmcnt(0)
	global_store_short v[0:1], v2, off offset:3328
	s_endpgm
	.section	.rodata,"a",@progbits
	.p2align	6, 0x0
	.amdhsa_kernel _ZN7rocprim17ROCPRIM_304000_NS6detail18single_scan_kernelILb0ENS1_19wrapped_scan_configINS0_14default_configEsEEPKsPsSt4plusIsEssEEvT1_mT4_T2_T3_
		.amdhsa_group_segment_fixed_size 3584
		.amdhsa_private_segment_fixed_size 0
		.amdhsa_kernarg_size 36
		.amdhsa_user_sgpr_count 2
		.amdhsa_user_sgpr_dispatch_ptr 0
		.amdhsa_user_sgpr_queue_ptr 0
		.amdhsa_user_sgpr_kernarg_segment_ptr 1
		.amdhsa_user_sgpr_dispatch_id 0
		.amdhsa_user_sgpr_kernarg_preload_length 0
		.amdhsa_user_sgpr_kernarg_preload_offset 0
		.amdhsa_user_sgpr_private_segment_size 0
		.amdhsa_uses_dynamic_stack 0
		.amdhsa_enable_private_segment 0
		.amdhsa_system_sgpr_workgroup_id_x 1
		.amdhsa_system_sgpr_workgroup_id_y 0
		.amdhsa_system_sgpr_workgroup_id_z 0
		.amdhsa_system_sgpr_workgroup_info 0
		.amdhsa_system_vgpr_workitem_id 0
		.amdhsa_next_free_vgpr 22
		.amdhsa_next_free_sgpr 32
		.amdhsa_accum_offset 24
		.amdhsa_reserve_vcc 1
		.amdhsa_float_round_mode_32 0
		.amdhsa_float_round_mode_16_64 0
		.amdhsa_float_denorm_mode_32 3
		.amdhsa_float_denorm_mode_16_64 3
		.amdhsa_dx10_clamp 1
		.amdhsa_ieee_mode 1
		.amdhsa_fp16_overflow 0
		.amdhsa_tg_split 0
		.amdhsa_exception_fp_ieee_invalid_op 0
		.amdhsa_exception_fp_denorm_src 0
		.amdhsa_exception_fp_ieee_div_zero 0
		.amdhsa_exception_fp_ieee_overflow 0
		.amdhsa_exception_fp_ieee_underflow 0
		.amdhsa_exception_fp_ieee_inexact 0
		.amdhsa_exception_int_div_zero 0
	.end_amdhsa_kernel
	.section	.text._ZN7rocprim17ROCPRIM_304000_NS6detail18single_scan_kernelILb0ENS1_19wrapped_scan_configINS0_14default_configEsEEPKsPsSt4plusIsEssEEvT1_mT4_T2_T3_,"axG",@progbits,_ZN7rocprim17ROCPRIM_304000_NS6detail18single_scan_kernelILb0ENS1_19wrapped_scan_configINS0_14default_configEsEEPKsPsSt4plusIsEssEEvT1_mT4_T2_T3_,comdat
.Lfunc_end51:
	.size	_ZN7rocprim17ROCPRIM_304000_NS6detail18single_scan_kernelILb0ENS1_19wrapped_scan_configINS0_14default_configEsEEPKsPsSt4plusIsEssEEvT1_mT4_T2_T3_, .Lfunc_end51-_ZN7rocprim17ROCPRIM_304000_NS6detail18single_scan_kernelILb0ENS1_19wrapped_scan_configINS0_14default_configEsEEPKsPsSt4plusIsEssEEvT1_mT4_T2_T3_
                                        ; -- End function
	.set _ZN7rocprim17ROCPRIM_304000_NS6detail18single_scan_kernelILb0ENS1_19wrapped_scan_configINS0_14default_configEsEEPKsPsSt4plusIsEssEEvT1_mT4_T2_T3_.num_vgpr, 22
	.set _ZN7rocprim17ROCPRIM_304000_NS6detail18single_scan_kernelILb0ENS1_19wrapped_scan_configINS0_14default_configEsEEPKsPsSt4plusIsEssEEvT1_mT4_T2_T3_.num_agpr, 0
	.set _ZN7rocprim17ROCPRIM_304000_NS6detail18single_scan_kernelILb0ENS1_19wrapped_scan_configINS0_14default_configEsEEPKsPsSt4plusIsEssEEvT1_mT4_T2_T3_.numbered_sgpr, 32
	.set _ZN7rocprim17ROCPRIM_304000_NS6detail18single_scan_kernelILb0ENS1_19wrapped_scan_configINS0_14default_configEsEEPKsPsSt4plusIsEssEEvT1_mT4_T2_T3_.num_named_barrier, 0
	.set _ZN7rocprim17ROCPRIM_304000_NS6detail18single_scan_kernelILb0ENS1_19wrapped_scan_configINS0_14default_configEsEEPKsPsSt4plusIsEssEEvT1_mT4_T2_T3_.private_seg_size, 0
	.set _ZN7rocprim17ROCPRIM_304000_NS6detail18single_scan_kernelILb0ENS1_19wrapped_scan_configINS0_14default_configEsEEPKsPsSt4plusIsEssEEvT1_mT4_T2_T3_.uses_vcc, 1
	.set _ZN7rocprim17ROCPRIM_304000_NS6detail18single_scan_kernelILb0ENS1_19wrapped_scan_configINS0_14default_configEsEEPKsPsSt4plusIsEssEEvT1_mT4_T2_T3_.uses_flat_scratch, 0
	.set _ZN7rocprim17ROCPRIM_304000_NS6detail18single_scan_kernelILb0ENS1_19wrapped_scan_configINS0_14default_configEsEEPKsPsSt4plusIsEssEEvT1_mT4_T2_T3_.has_dyn_sized_stack, 0
	.set _ZN7rocprim17ROCPRIM_304000_NS6detail18single_scan_kernelILb0ENS1_19wrapped_scan_configINS0_14default_configEsEEPKsPsSt4plusIsEssEEvT1_mT4_T2_T3_.has_recursion, 0
	.set _ZN7rocprim17ROCPRIM_304000_NS6detail18single_scan_kernelILb0ENS1_19wrapped_scan_configINS0_14default_configEsEEPKsPsSt4plusIsEssEEvT1_mT4_T2_T3_.has_indirect_call, 0
	.section	.AMDGPU.csdata,"",@progbits
; Kernel info:
; codeLenInByte = 2436
; TotalNumSgprs: 38
; NumVgprs: 22
; NumAgprs: 0
; TotalNumVgprs: 22
; ScratchSize: 0
; MemoryBound: 0
; FloatMode: 240
; IeeeMode: 1
; LDSByteSize: 3584 bytes/workgroup (compile time only)
; SGPRBlocks: 4
; VGPRBlocks: 2
; NumSGPRsForWavesPerEU: 38
; NumVGPRsForWavesPerEU: 22
; AccumOffset: 24
; Occupancy: 8
; WaveLimiterHint : 0
; COMPUTE_PGM_RSRC2:SCRATCH_EN: 0
; COMPUTE_PGM_RSRC2:USER_SGPR: 2
; COMPUTE_PGM_RSRC2:TRAP_HANDLER: 0
; COMPUTE_PGM_RSRC2:TGID_X_EN: 1
; COMPUTE_PGM_RSRC2:TGID_Y_EN: 0
; COMPUTE_PGM_RSRC2:TGID_Z_EN: 0
; COMPUTE_PGM_RSRC2:TIDIG_COMP_CNT: 0
; COMPUTE_PGM_RSRC3_GFX90A:ACCUM_OFFSET: 5
; COMPUTE_PGM_RSRC3_GFX90A:TG_SPLIT: 0
	.section	.text._ZN2at6native32tensor_kernel_scan_innermost_dimIsSt4plusIsEEEvPT_PKS4_jjjS4_T0_,"axG",@progbits,_ZN2at6native32tensor_kernel_scan_innermost_dimIsSt4plusIsEEEvPT_PKS4_jjjS4_T0_,comdat
	.protected	_ZN2at6native32tensor_kernel_scan_innermost_dimIsSt4plusIsEEEvPT_PKS4_jjjS4_T0_ ; -- Begin function _ZN2at6native32tensor_kernel_scan_innermost_dimIsSt4plusIsEEEvPT_PKS4_jjjS4_T0_
	.globl	_ZN2at6native32tensor_kernel_scan_innermost_dimIsSt4plusIsEEEvPT_PKS4_jjjS4_T0_
	.p2align	8
	.type	_ZN2at6native32tensor_kernel_scan_innermost_dimIsSt4plusIsEEEvPT_PKS4_jjjS4_T0_,@function
_ZN2at6native32tensor_kernel_scan_innermost_dimIsSt4plusIsEEEvPT_PKS4_jjjS4_T0_: ; @_ZN2at6native32tensor_kernel_scan_innermost_dimIsSt4plusIsEEEvPT_PKS4_jjjS4_T0_
; %bb.0:
	s_load_dwordx8 s[12:19], s[0:1], 0x0
	v_bfe_u32 v2, v0, 10, 10
	s_waitcnt lgkmcnt(0)
	s_lshl_b32 s3, 2, s18
	s_mul_hi_u32 s4, s16, s17
	v_mul_lo_u32 v1, s3, v2
	v_lshl_add_u32 v18, v1, 1, 0
	s_cmp_lg_u32 s4, 0
	s_mov_b64 s[4:5], -1
	s_cbranch_scc1 .LBB52_26
; %bb.1:
	s_load_dword s6, s[0:1], 0x2c
	s_add_u32 s4, s0, 32
	s_addc_u32 s5, s1, 0
	s_waitcnt lgkmcnt(0)
	s_lshr_b32 s6, s6, 16
	s_mul_i32 s24, s2, s6
	s_cmp_ge_u32 s24, s16
	s_cbranch_scc1 .LBB52_25
; %bb.2:
	s_load_dword s26, s[4:5], 0x0
	s_lshl_b32 s25, 1, s18
	s_cmp_lg_u32 s17, 0
	s_cselect_b64 s[10:11], -1, 0
	v_and_b32_e32 v1, 0x3ff, v0
	v_lshl_add_u32 v3, v1, 1, v18
	s_lshl_b32 s4, s3, 1
	v_cndmask_b32_e64 v4, 0, 1, s[10:11]
	v_lshl_add_u32 v12, s25, 1, v3
	v_cmp_eq_u32_e64 s[8:9], 0, v1
	v_add3_u32 v13, v18, s4, -2
	s_waitcnt lgkmcnt(0)
	s_mul_i32 s26, s26, s6
	s_add_i32 s27, s18, 1
	v_cmp_ne_u32_e64 s[4:5], 1, v4
	v_mov_b32_e32 v5, 0
	s_branch .LBB52_4
.LBB52_3:                               ;   in Loop: Header=BB52_4 Depth=1
	s_add_i32 s24, s24, s26
	s_cmp_ge_u32 s24, s16
	s_cbranch_scc1 .LBB52_25
.LBB52_4:                               ; =>This Loop Header: Depth=1
                                        ;     Child Loop BB52_7 Depth 2
                                        ;       Child Loop BB52_16 Depth 3
	s_and_b64 vcc, exec, s[4:5]
	s_cbranch_vccnz .LBB52_3
; %bb.5:                                ;   in Loop: Header=BB52_4 Depth=1
	v_add_u32_e32 v10, s24, v2
	v_mul_lo_u32 v4, v10, s17
	v_lshlrev_b64 v[8:9], 1, v[4:5]
	v_lshl_add_u64 v[6:7], s[14:15], 0, v[8:9]
	v_lshl_add_u64 v[8:9], s[12:13], 0, v[8:9]
	v_cmp_gt_u32_e32 vcc, s16, v10
	v_cmp_le_u32_e64 s[6:7], s16, v10
	s_mov_b32 s28, 0
	v_mov_b32_e32 v14, s19
	s_branch .LBB52_7
.LBB52_6:                               ;   in Loop: Header=BB52_7 Depth=2
	s_or_b64 exec, exec, s[20:21]
	ds_read_u16 v14, v13
	s_add_i32 s28, s28, s3
	s_cmp_ge_u32 s28, s17
	s_waitcnt lgkmcnt(0)
	s_barrier
	s_cbranch_scc1 .LBB52_3
.LBB52_7:                               ;   Parent Loop BB52_4 Depth=1
                                        ; =>  This Loop Header: Depth=2
                                        ;       Child Loop BB52_16 Depth 3
	v_add_u32_e32 v4, s28, v1
	v_add_u32_e32 v10, s25, v4
	s_and_saveexec_b64 s[20:21], vcc
	s_cbranch_execz .LBB52_14
; %bb.8:                                ;   in Loop: Header=BB52_7 Depth=2
	v_cmp_gt_u32_e64 s[10:11], s17, v4
	v_mov_b32_e32 v11, s19
	s_and_saveexec_b64 s[22:23], s[10:11]
	s_cbranch_execz .LBB52_10
; %bb.9:                                ;   in Loop: Header=BB52_7 Depth=2
	v_lshl_add_u64 v[16:17], v[4:5], 1, v[6:7]
	global_load_ushort v11, v[16:17], off
.LBB52_10:                              ;   in Loop: Header=BB52_7 Depth=2
	s_or_b64 exec, exec, s[22:23]
	s_waitcnt vmcnt(0)
	ds_write_b16 v3, v11
	v_cmp_gt_u32_e64 s[10:11], s17, v10
	v_mov_b32_e32 v11, s19
	s_and_saveexec_b64 s[22:23], s[10:11]
	s_cbranch_execz .LBB52_12
; %bb.11:                               ;   in Loop: Header=BB52_7 Depth=2
	v_mov_b32_e32 v11, v5
	v_lshl_add_u64 v[16:17], v[10:11], 1, v[6:7]
	global_load_ushort v11, v[16:17], off
.LBB52_12:                              ;   in Loop: Header=BB52_7 Depth=2
	s_or_b64 exec, exec, s[22:23]
	s_waitcnt vmcnt(0)
	ds_write_b16 v12, v11
	s_and_b64 exec, exec, s[8:9]
	s_cbranch_execz .LBB52_14
; %bb.13:                               ;   in Loop: Header=BB52_7 Depth=2
	ds_read_u16 v11, v18
	s_waitcnt lgkmcnt(0)
	v_add_u16_e32 v11, v11, v14
	ds_write_b16 v18, v11
.LBB52_14:                              ;   in Loop: Header=BB52_7 Depth=2
	s_or_b64 exec, exec, s[20:21]
	v_mov_b32_e32 v11, 0
	s_mov_b64 s[20:21], 0
	s_waitcnt lgkmcnt(0)
	s_barrier
	s_branch .LBB52_16
.LBB52_15:                              ;   in Loop: Header=BB52_16 Depth=3
	s_or_b64 exec, exec, s[10:11]
	v_cmp_eq_u32_e64 s[10:11], s27, v11
	s_or_b64 s[20:21], s[10:11], s[20:21]
	s_waitcnt lgkmcnt(0)
	s_barrier
	s_andn2_b64 exec, exec, s[20:21]
	s_cbranch_execz .LBB52_20
.LBB52_16:                              ;   Parent Loop BB52_4 Depth=1
                                        ;     Parent Loop BB52_7 Depth=2
                                        ; =>    This Inner Loop Header: Depth=3
	v_add_u32_e32 v14, 1, v11
	s_and_saveexec_b64 s[10:11], s[6:7]
	s_xor_b64 s[10:11], exec, s[10:11]
; %bb.17:                               ;   in Loop: Header=BB52_16 Depth=3
	v_add_u32_e32 v11, 1, v11
                                        ; implicit-def: $vgpr14
; %bb.18:                               ;   in Loop: Header=BB52_16 Depth=3
	s_andn2_saveexec_b64 s[10:11], s[10:11]
	s_cbranch_execz .LBB52_15
; %bb.19:                               ;   in Loop: Header=BB52_16 Depth=3
	v_lshlrev_b32_e64 v15, v11, 1
	v_lshrrev_b32_e32 v16, v11, v1
	v_lshl_or_b32 v15, v16, v14, v15
	v_bfm_b32 v11, v11, 0
	v_and_b32_e32 v11, v11, v1
	v_lshl_add_u32 v15, v15, 1, v18
	v_lshl_add_u32 v11, v11, 1, v15
	v_add_u32_e32 v15, -2, v15
	ds_read_u16 v16, v11
	ds_read_u16 v15, v15
	s_waitcnt lgkmcnt(0)
	v_add_u16_e32 v15, v15, v16
	ds_write_b16 v11, v15
	v_mov_b32_e32 v11, v14
	s_branch .LBB52_15
.LBB52_20:                              ;   in Loop: Header=BB52_7 Depth=2
	s_or_b64 exec, exec, s[20:21]
	s_and_saveexec_b64 s[20:21], vcc
	s_cbranch_execz .LBB52_6
; %bb.21:                               ;   in Loop: Header=BB52_7 Depth=2
	v_cmp_gt_u32_e64 s[10:11], s17, v4
	s_and_saveexec_b64 s[22:23], s[10:11]
	s_cbranch_execz .LBB52_23
; %bb.22:                               ;   in Loop: Header=BB52_7 Depth=2
	ds_read_u16 v11, v3
	v_lshl_add_u64 v[14:15], v[4:5], 1, v[8:9]
	s_waitcnt lgkmcnt(0)
	global_store_short v[14:15], v11, off
.LBB52_23:                              ;   in Loop: Header=BB52_7 Depth=2
	s_or_b64 exec, exec, s[22:23]
	v_cmp_gt_u32_e64 s[10:11], s17, v10
	s_and_b64 exec, exec, s[10:11]
	s_cbranch_execz .LBB52_6
; %bb.24:                               ;   in Loop: Header=BB52_7 Depth=2
	ds_read_u16 v4, v12
	v_mov_b32_e32 v11, v5
	v_lshl_add_u64 v[10:11], v[10:11], 1, v[8:9]
	s_waitcnt lgkmcnt(0)
	global_store_short v[10:11], v4, off
	s_branch .LBB52_6
.LBB52_25:
	s_mov_b64 s[4:5], 0
.LBB52_26:
	s_andn2_b64 vcc, exec, s[4:5]
	s_cbranch_vccnz .LBB52_53
; %bb.27:
	s_load_dword s3, s[0:1], 0x2c
	s_add_u32 s0, s0, 32
	s_mov_b32 s9, 0
	s_addc_u32 s1, s1, 0
	s_mov_b32 s8, s16
	s_waitcnt lgkmcnt(0)
	s_lshr_b32 s3, s3, 16
	s_mul_hi_u32 s11, s3, s2
	s_mul_i32 s10, s3, s2
	v_mov_b64_e32 v[4:5], s[8:9]
	v_cmp_ge_u64_e32 vcc, s[10:11], v[4:5]
	s_cbranch_vccnz .LBB52_53
; %bb.28:
	s_lshl_b32 s20, 1, s18
	s_load_dword s5, s[0:1], 0x0
	s_and_b32 s4, 0xffff, s3
	s_ashr_i32 s21, s20, 31
	s_cmp_lg_u32 s17, 0
	s_mov_b32 s22, s17
	s_cselect_b64 s[2:3], -1, 0
	v_and_b32_e32 v0, 0x3ff, v0
	s_lshl_b64 s[16:17], s[20:21], 1
	v_mov_b32_e32 v3, 0
	v_lshl_add_u32 v19, v0, 1, v18
	s_lshl_b32 s6, s16, 1
	v_cndmask_b32_e64 v4, 0, 1, s[2:3]
	s_mov_b32 s23, s9
	v_mov_b32_e32 v1, v3
	v_lshl_add_u32 v20, s20, 1, v19
	v_cmp_eq_u32_e64 s[0:1], 0, v0
	v_add3_u32 v21, v18, s6, -2
	s_waitcnt lgkmcnt(0)
	s_mul_i32 s33, s5, s4
	s_add_i32 s18, s18, 1
	v_cmp_ne_u32_e64 s[2:3], 1, v4
	v_mov_b64_e32 v[4:5], s[8:9]
	s_branch .LBB52_30
.LBB52_29:                              ;   in Loop: Header=BB52_30 Depth=1
	s_add_u32 s10, s10, s33
	s_addc_u32 s11, s11, 0
	v_cmp_ge_u64_e32 vcc, s[10:11], v[4:5]
	s_cbranch_vccnz .LBB52_53
.LBB52_30:                              ; =>This Loop Header: Depth=1
                                        ;     Child Loop BB52_33 Depth 2
                                        ;       Child Loop BB52_43 Depth 3
	s_and_b64 vcc, exec, s[2:3]
	s_cbranch_vccnz .LBB52_29
; %bb.31:                               ;   in Loop: Header=BB52_30 Depth=1
	v_lshl_add_u64 v[10:11], s[10:11], 0, v[2:3]
	v_mad_u64_u32 v[6:7], s[4:5], v10, s22, 0
	v_mov_b32_e32 v8, v7
	v_mad_u64_u32 v[8:9], s[4:5], v11, s22, v[8:9]
	v_mov_b32_e32 v7, v8
	v_lshlrev_b64 v[8:9], 1, v[6:7]
	v_lshl_add_u64 v[6:7], s[14:15], 0, v[8:9]
	v_lshl_add_u64 v[8:9], s[12:13], 0, v[8:9]
	v_cmp_gt_u64_e64 s[4:5], s[8:9], v[10:11]
	v_cmp_le_u64_e64 s[6:7], s[8:9], v[10:11]
	s_mov_b64 s[24:25], 0
	v_mov_b32_e32 v14, s19
	s_branch .LBB52_33
.LBB52_32:                              ;   in Loop: Header=BB52_33 Depth=2
	s_or_b64 exec, exec, s[26:27]
	ds_read_u16 v14, v21
	s_add_u32 s24, s24, s16
	s_addc_u32 s25, s25, s17
	v_mov_b64_e32 v[10:11], s[22:23]
	v_cmp_ge_u64_e32 vcc, s[24:25], v[10:11]
	s_waitcnt lgkmcnt(0)
	s_barrier
	s_cbranch_vccnz .LBB52_29
.LBB52_33:                              ;   Parent Loop BB52_30 Depth=1
                                        ; =>  This Loop Header: Depth=2
                                        ;       Child Loop BB52_43 Depth 3
	v_lshl_add_u64 v[12:13], s[24:25], 0, v[0:1]
	v_lshl_add_u64 v[10:11], v[12:13], 0, s[20:21]
	s_and_saveexec_b64 s[26:27], s[4:5]
	s_cbranch_execz .LBB52_40
; %bb.34:                               ;   in Loop: Header=BB52_33 Depth=2
	v_cmp_gt_u64_e32 vcc, s[22:23], v[12:13]
	v_mov_b32_e32 v15, s19
	s_and_saveexec_b64 s[28:29], vcc
	s_cbranch_execz .LBB52_36
; %bb.35:                               ;   in Loop: Header=BB52_33 Depth=2
	v_lshl_add_u64 v[16:17], v[12:13], 1, v[6:7]
	global_load_ushort v15, v[16:17], off
.LBB52_36:                              ;   in Loop: Header=BB52_33 Depth=2
	s_or_b64 exec, exec, s[28:29]
	s_waitcnt vmcnt(0)
	ds_write_b16 v19, v15
	v_cmp_gt_u64_e32 vcc, s[22:23], v[10:11]
	v_mov_b32_e32 v15, s19
	s_and_saveexec_b64 s[28:29], vcc
	s_cbranch_execz .LBB52_38
; %bb.37:                               ;   in Loop: Header=BB52_33 Depth=2
	v_lshl_add_u64 v[16:17], v[10:11], 1, v[6:7]
	global_load_ushort v15, v[16:17], off
.LBB52_38:                              ;   in Loop: Header=BB52_33 Depth=2
	s_or_b64 exec, exec, s[28:29]
	s_waitcnt vmcnt(0)
	ds_write_b16 v20, v15
	s_and_b64 exec, exec, s[0:1]
	s_cbranch_execz .LBB52_40
; %bb.39:                               ;   in Loop: Header=BB52_33 Depth=2
	ds_read_u16 v15, v18
	s_waitcnt lgkmcnt(0)
	v_add_u16_e32 v14, v15, v14
	ds_write_b16 v18, v14
.LBB52_40:                              ;   in Loop: Header=BB52_33 Depth=2
	s_or_b64 exec, exec, s[26:27]
	v_mov_b32_e32 v23, 0
	s_mov_b64 s[26:27], 0
	s_waitcnt lgkmcnt(0)
	s_barrier
	s_branch .LBB52_43
.LBB52_41:                              ;   in Loop: Header=BB52_43 Depth=3
	s_or_b64 exec, exec, s[30:31]
	v_lshrrev_b32_e32 v15, v23, v0
	v_lshl_or_b32 v14, v15, v22, v14
	v_lshl_add_u32 v14, v14, 1, v18
	v_lshl_add_u32 v15, v16, 1, v14
	v_add_u32_e32 v14, -2, v14
	ds_read_u16 v16, v15
	ds_read_u16 v14, v14
	s_waitcnt lgkmcnt(0)
	v_add_u16_e32 v14, v14, v16
	ds_write_b16 v15, v14
.LBB52_42:                              ;   in Loop: Header=BB52_43 Depth=3
	s_or_b64 exec, exec, s[28:29]
	v_cmp_eq_u32_e32 vcc, s18, v22
	s_or_b64 s[26:27], vcc, s[26:27]
	v_mov_b32_e32 v23, v22
	s_waitcnt lgkmcnt(0)
	s_barrier
	s_andn2_b64 exec, exec, s[26:27]
	s_cbranch_execz .LBB52_48
.LBB52_43:                              ;   Parent Loop BB52_30 Depth=1
                                        ;     Parent Loop BB52_33 Depth=2
                                        ; =>    This Inner Loop Header: Depth=3
	v_add_u32_e32 v22, 1, v23
	s_and_saveexec_b64 s[28:29], s[6:7]
	s_xor_b64 s[28:29], exec, s[28:29]
; %bb.44:                               ;   in Loop: Header=BB52_43 Depth=3
	v_add_u32_e32 v22, 1, v23
                                        ; implicit-def: $vgpr23
; %bb.45:                               ;   in Loop: Header=BB52_43 Depth=3
	s_andn2_saveexec_b64 s[28:29], s[28:29]
	s_cbranch_execz .LBB52_42
; %bb.46:                               ;   in Loop: Header=BB52_43 Depth=3
	v_lshlrev_b32_e64 v14, v23, 1
	v_ashrrev_i32_e32 v15, 31, v14
	v_cmp_ge_u64_e32 vcc, v[0:1], v[14:15]
	v_mov_b64_e32 v[16:17], v[0:1]
	s_and_saveexec_b64 s[30:31], vcc
	s_cbranch_execz .LBB52_41
; %bb.47:                               ;   in Loop: Header=BB52_43 Depth=3
	v_cvt_f32_u32_e32 v15, v14
	v_sub_u32_e32 v16, 0, v14
	v_rcp_iflag_f32_e32 v15, v15
	s_nop 0
	v_mul_f32_e32 v15, 0x4f7ffffe, v15
	v_cvt_u32_f32_e32 v15, v15
	v_mul_lo_u32 v16, v16, v15
	v_mul_hi_u32 v16, v15, v16
	v_add_u32_e32 v15, v15, v16
	v_mul_hi_u32 v15, v0, v15
	v_mul_lo_u32 v15, v15, v14
	v_sub_u32_e32 v15, v0, v15
	v_sub_u32_e32 v16, v15, v14
	v_cmp_ge_u32_e32 vcc, v15, v14
	s_nop 1
	v_cndmask_b32_e32 v15, v15, v16, vcc
	v_sub_u32_e32 v16, v15, v14
	v_cmp_ge_u32_e32 vcc, v15, v14
	s_nop 1
	v_cndmask_b32_e32 v16, v15, v16, vcc
	s_branch .LBB52_41
.LBB52_48:                              ;   in Loop: Header=BB52_33 Depth=2
	s_or_b64 exec, exec, s[26:27]
	s_and_saveexec_b64 s[26:27], s[4:5]
	s_cbranch_execz .LBB52_32
; %bb.49:                               ;   in Loop: Header=BB52_33 Depth=2
	v_cmp_gt_u64_e32 vcc, s[22:23], v[12:13]
	s_and_saveexec_b64 s[28:29], vcc
	s_cbranch_execz .LBB52_51
; %bb.50:                               ;   in Loop: Header=BB52_33 Depth=2
	ds_read_u16 v14, v19
	v_lshl_add_u64 v[12:13], v[12:13], 1, v[8:9]
	s_waitcnt lgkmcnt(0)
	global_store_short v[12:13], v14, off
.LBB52_51:                              ;   in Loop: Header=BB52_33 Depth=2
	s_or_b64 exec, exec, s[28:29]
	v_cmp_gt_u64_e32 vcc, s[22:23], v[10:11]
	s_and_b64 exec, exec, vcc
	s_cbranch_execz .LBB52_32
; %bb.52:                               ;   in Loop: Header=BB52_33 Depth=2
	ds_read_u16 v12, v20
	v_lshl_add_u64 v[10:11], v[10:11], 1, v[8:9]
	s_waitcnt lgkmcnt(0)
	global_store_short v[10:11], v12, off
	s_branch .LBB52_32
.LBB52_53:
	s_endpgm
	.section	.rodata,"a",@progbits
	.p2align	6, 0x0
	.amdhsa_kernel _ZN2at6native32tensor_kernel_scan_innermost_dimIsSt4plusIsEEEvPT_PKS4_jjjS4_T0_
		.amdhsa_group_segment_fixed_size 0
		.amdhsa_private_segment_fixed_size 0
		.amdhsa_kernarg_size 288
		.amdhsa_user_sgpr_count 2
		.amdhsa_user_sgpr_dispatch_ptr 0
		.amdhsa_user_sgpr_queue_ptr 0
		.amdhsa_user_sgpr_kernarg_segment_ptr 1
		.amdhsa_user_sgpr_dispatch_id 0
		.amdhsa_user_sgpr_kernarg_preload_length 0
		.amdhsa_user_sgpr_kernarg_preload_offset 0
		.amdhsa_user_sgpr_private_segment_size 0
		.amdhsa_uses_dynamic_stack 0
		.amdhsa_enable_private_segment 0
		.amdhsa_system_sgpr_workgroup_id_x 1
		.amdhsa_system_sgpr_workgroup_id_y 0
		.amdhsa_system_sgpr_workgroup_id_z 0
		.amdhsa_system_sgpr_workgroup_info 0
		.amdhsa_system_vgpr_workitem_id 1
		.amdhsa_next_free_vgpr 24
		.amdhsa_next_free_sgpr 34
		.amdhsa_accum_offset 24
		.amdhsa_reserve_vcc 1
		.amdhsa_float_round_mode_32 0
		.amdhsa_float_round_mode_16_64 0
		.amdhsa_float_denorm_mode_32 3
		.amdhsa_float_denorm_mode_16_64 3
		.amdhsa_dx10_clamp 1
		.amdhsa_ieee_mode 1
		.amdhsa_fp16_overflow 0
		.amdhsa_tg_split 0
		.amdhsa_exception_fp_ieee_invalid_op 0
		.amdhsa_exception_fp_denorm_src 0
		.amdhsa_exception_fp_ieee_div_zero 0
		.amdhsa_exception_fp_ieee_overflow 0
		.amdhsa_exception_fp_ieee_underflow 0
		.amdhsa_exception_fp_ieee_inexact 0
		.amdhsa_exception_int_div_zero 0
	.end_amdhsa_kernel
	.section	.text._ZN2at6native32tensor_kernel_scan_innermost_dimIsSt4plusIsEEEvPT_PKS4_jjjS4_T0_,"axG",@progbits,_ZN2at6native32tensor_kernel_scan_innermost_dimIsSt4plusIsEEEvPT_PKS4_jjjS4_T0_,comdat
.Lfunc_end52:
	.size	_ZN2at6native32tensor_kernel_scan_innermost_dimIsSt4plusIsEEEvPT_PKS4_jjjS4_T0_, .Lfunc_end52-_ZN2at6native32tensor_kernel_scan_innermost_dimIsSt4plusIsEEEvPT_PKS4_jjjS4_T0_
                                        ; -- End function
	.set _ZN2at6native32tensor_kernel_scan_innermost_dimIsSt4plusIsEEEvPT_PKS4_jjjS4_T0_.num_vgpr, 24
	.set _ZN2at6native32tensor_kernel_scan_innermost_dimIsSt4plusIsEEEvPT_PKS4_jjjS4_T0_.num_agpr, 0
	.set _ZN2at6native32tensor_kernel_scan_innermost_dimIsSt4plusIsEEEvPT_PKS4_jjjS4_T0_.numbered_sgpr, 34
	.set _ZN2at6native32tensor_kernel_scan_innermost_dimIsSt4plusIsEEEvPT_PKS4_jjjS4_T0_.num_named_barrier, 0
	.set _ZN2at6native32tensor_kernel_scan_innermost_dimIsSt4plusIsEEEvPT_PKS4_jjjS4_T0_.private_seg_size, 0
	.set _ZN2at6native32tensor_kernel_scan_innermost_dimIsSt4plusIsEEEvPT_PKS4_jjjS4_T0_.uses_vcc, 1
	.set _ZN2at6native32tensor_kernel_scan_innermost_dimIsSt4plusIsEEEvPT_PKS4_jjjS4_T0_.uses_flat_scratch, 0
	.set _ZN2at6native32tensor_kernel_scan_innermost_dimIsSt4plusIsEEEvPT_PKS4_jjjS4_T0_.has_dyn_sized_stack, 0
	.set _ZN2at6native32tensor_kernel_scan_innermost_dimIsSt4plusIsEEEvPT_PKS4_jjjS4_T0_.has_recursion, 0
	.set _ZN2at6native32tensor_kernel_scan_innermost_dimIsSt4plusIsEEEvPT_PKS4_jjjS4_T0_.has_indirect_call, 0
	.section	.AMDGPU.csdata,"",@progbits
; Kernel info:
; codeLenInByte = 1624
; TotalNumSgprs: 40
; NumVgprs: 24
; NumAgprs: 0
; TotalNumVgprs: 24
; ScratchSize: 0
; MemoryBound: 0
; FloatMode: 240
; IeeeMode: 1
; LDSByteSize: 0 bytes/workgroup (compile time only)
; SGPRBlocks: 4
; VGPRBlocks: 2
; NumSGPRsForWavesPerEU: 40
; NumVGPRsForWavesPerEU: 24
; AccumOffset: 24
; Occupancy: 8
; WaveLimiterHint : 0
; COMPUTE_PGM_RSRC2:SCRATCH_EN: 0
; COMPUTE_PGM_RSRC2:USER_SGPR: 2
; COMPUTE_PGM_RSRC2:TRAP_HANDLER: 0
; COMPUTE_PGM_RSRC2:TGID_X_EN: 1
; COMPUTE_PGM_RSRC2:TGID_Y_EN: 0
; COMPUTE_PGM_RSRC2:TGID_Z_EN: 0
; COMPUTE_PGM_RSRC2:TIDIG_COMP_CNT: 1
; COMPUTE_PGM_RSRC3_GFX90A:ACCUM_OFFSET: 5
; COMPUTE_PGM_RSRC3_GFX90A:TG_SPLIT: 0
	.section	.text._ZN2at6native28tensor_kernel_scan_outer_dimIsjSt4plusIsEEEvPT_PKS4_jjjS4_T1_,"axG",@progbits,_ZN2at6native28tensor_kernel_scan_outer_dimIsjSt4plusIsEEEvPT_PKS4_jjjS4_T1_,comdat
	.protected	_ZN2at6native28tensor_kernel_scan_outer_dimIsjSt4plusIsEEEvPT_PKS4_jjjS4_T1_ ; -- Begin function _ZN2at6native28tensor_kernel_scan_outer_dimIsjSt4plusIsEEEvPT_PKS4_jjjS4_T1_
	.globl	_ZN2at6native28tensor_kernel_scan_outer_dimIsjSt4plusIsEEEvPT_PKS4_jjjS4_T1_
	.p2align	8
	.type	_ZN2at6native28tensor_kernel_scan_outer_dimIsjSt4plusIsEEEvPT_PKS4_jjjS4_T1_,@function
_ZN2at6native28tensor_kernel_scan_outer_dimIsjSt4plusIsEEEvPT_PKS4_jjjS4_T1_: ; @_ZN2at6native28tensor_kernel_scan_outer_dimIsjSt4plusIsEEEvPT_PKS4_jjjS4_T1_
; %bb.0:
	s_load_dwordx4 s[8:11], s[0:1], 0x10
	s_waitcnt lgkmcnt(0)
	s_cmp_ge_u32 s2, s8
	s_cbranch_scc1 .LBB53_9
; %bb.1:
	s_load_dword s4, s[0:1], 0x2c
	s_load_dwordx4 s[12:15], s[0:1], 0x0
	s_load_dword s26, s[0:1], 0x20
	s_add_u32 s6, s0, 32
	s_addc_u32 s7, s1, 0
	s_waitcnt lgkmcnt(0)
	s_and_b32 s27, s4, 0xffff
	s_mul_i32 s3, s3, s27
	s_cmp_lg_u32 s10, 0
	v_add_u32_e32 v4, s3, v0
	s_cselect_b64 s[4:5], -1, 0
	s_mul_i32 s3, s2, s10
	s_mov_b32 s17, 0
	s_mov_b32 s16, s9
	s_mul_i32 s20, s3, s9
	s_mul_i32 s3, s26, s10
	v_cndmask_b32_e64 v0, 0, 1, s[4:5]
	v_cmp_gt_u32_e64 s[0:1], s9, v4
	s_mul_i32 s3, s3, s9
	s_lshl_b64 s[18:19], s[16:17], 1
	v_cmp_ne_u32_e64 s[4:5], 1, v0
	v_mov_b32_e32 v1, 0
	s_mov_b32 s16, s20
	s_branch .LBB53_3
.LBB53_2:                               ;   in Loop: Header=BB53_3 Depth=1
	s_or_b64 exec, exec, s[20:21]
	s_add_i32 s2, s26, s2
	s_add_i32 s16, s16, s3
	s_cmp_ge_u32 s2, s8
	s_cbranch_scc1 .LBB53_9
.LBB53_3:                               ; =>This Loop Header: Depth=1
                                        ;     Child Loop BB53_6 Depth 2
                                        ;       Child Loop BB53_8 Depth 3
	s_and_saveexec_b64 s[20:21], s[0:1]
	s_cbranch_execz .LBB53_2
; %bb.4:                                ;   in Loop: Header=BB53_3 Depth=1
	s_load_dword s28, s[6:7], 0x4
	s_lshl_b64 s[22:23], s[16:17], 1
	s_mov_b64 s[24:25], 0
	v_mov_b32_e32 v0, v4
	s_waitcnt lgkmcnt(0)
	s_mul_i32 s28, s28, s27
	s_branch .LBB53_6
.LBB53_5:                               ;   in Loop: Header=BB53_6 Depth=2
	v_add_u32_e32 v0, s28, v0
	v_cmp_le_u32_e32 vcc, s9, v0
	s_or_b64 s[24:25], vcc, s[24:25]
	s_andn2_b64 exec, exec, s[24:25]
	s_cbranch_execz .LBB53_2
.LBB53_6:                               ;   Parent Loop BB53_3 Depth=1
                                        ; =>  This Loop Header: Depth=2
                                        ;       Child Loop BB53_8 Depth 3
	s_and_b64 vcc, exec, s[4:5]
	s_cbranch_vccnz .LBB53_5
; %bb.7:                                ;   in Loop: Header=BB53_6 Depth=2
	v_lshl_add_u64 v[2:3], v[0:1], 1, s[22:23]
	v_mov_b32_e32 v5, s11
	s_mov_b32 s29, s10
.LBB53_8:                               ;   Parent Loop BB53_3 Depth=1
                                        ;     Parent Loop BB53_6 Depth=2
                                        ; =>    This Inner Loop Header: Depth=3
	v_lshl_add_u64 v[6:7], s[14:15], 0, v[2:3]
	global_load_ushort v8, v[6:7], off
	s_add_i32 s29, s29, -1
	v_lshl_add_u64 v[6:7], s[12:13], 0, v[2:3]
	v_lshl_add_u64 v[2:3], v[2:3], 0, s[18:19]
	s_cmp_eq_u32 s29, 0
	s_waitcnt vmcnt(0)
	v_add_u16_e32 v5, v8, v5
	global_store_short v[6:7], v5, off
	s_cbranch_scc0 .LBB53_8
	s_branch .LBB53_5
.LBB53_9:
	s_endpgm
	.section	.rodata,"a",@progbits
	.p2align	6, 0x0
	.amdhsa_kernel _ZN2at6native28tensor_kernel_scan_outer_dimIsjSt4plusIsEEEvPT_PKS4_jjjS4_T1_
		.amdhsa_group_segment_fixed_size 0
		.amdhsa_private_segment_fixed_size 0
		.amdhsa_kernarg_size 288
		.amdhsa_user_sgpr_count 2
		.amdhsa_user_sgpr_dispatch_ptr 0
		.amdhsa_user_sgpr_queue_ptr 0
		.amdhsa_user_sgpr_kernarg_segment_ptr 1
		.amdhsa_user_sgpr_dispatch_id 0
		.amdhsa_user_sgpr_kernarg_preload_length 0
		.amdhsa_user_sgpr_kernarg_preload_offset 0
		.amdhsa_user_sgpr_private_segment_size 0
		.amdhsa_uses_dynamic_stack 0
		.amdhsa_enable_private_segment 0
		.amdhsa_system_sgpr_workgroup_id_x 1
		.amdhsa_system_sgpr_workgroup_id_y 1
		.amdhsa_system_sgpr_workgroup_id_z 0
		.amdhsa_system_sgpr_workgroup_info 0
		.amdhsa_system_vgpr_workitem_id 0
		.amdhsa_next_free_vgpr 9
		.amdhsa_next_free_sgpr 30
		.amdhsa_accum_offset 12
		.amdhsa_reserve_vcc 1
		.amdhsa_float_round_mode_32 0
		.amdhsa_float_round_mode_16_64 0
		.amdhsa_float_denorm_mode_32 3
		.amdhsa_float_denorm_mode_16_64 3
		.amdhsa_dx10_clamp 1
		.amdhsa_ieee_mode 1
		.amdhsa_fp16_overflow 0
		.amdhsa_tg_split 0
		.amdhsa_exception_fp_ieee_invalid_op 0
		.amdhsa_exception_fp_denorm_src 0
		.amdhsa_exception_fp_ieee_div_zero 0
		.amdhsa_exception_fp_ieee_overflow 0
		.amdhsa_exception_fp_ieee_underflow 0
		.amdhsa_exception_fp_ieee_inexact 0
		.amdhsa_exception_int_div_zero 0
	.end_amdhsa_kernel
	.section	.text._ZN2at6native28tensor_kernel_scan_outer_dimIsjSt4plusIsEEEvPT_PKS4_jjjS4_T1_,"axG",@progbits,_ZN2at6native28tensor_kernel_scan_outer_dimIsjSt4plusIsEEEvPT_PKS4_jjjS4_T1_,comdat
.Lfunc_end53:
	.size	_ZN2at6native28tensor_kernel_scan_outer_dimIsjSt4plusIsEEEvPT_PKS4_jjjS4_T1_, .Lfunc_end53-_ZN2at6native28tensor_kernel_scan_outer_dimIsjSt4plusIsEEEvPT_PKS4_jjjS4_T1_
                                        ; -- End function
	.set _ZN2at6native28tensor_kernel_scan_outer_dimIsjSt4plusIsEEEvPT_PKS4_jjjS4_T1_.num_vgpr, 9
	.set _ZN2at6native28tensor_kernel_scan_outer_dimIsjSt4plusIsEEEvPT_PKS4_jjjS4_T1_.num_agpr, 0
	.set _ZN2at6native28tensor_kernel_scan_outer_dimIsjSt4plusIsEEEvPT_PKS4_jjjS4_T1_.numbered_sgpr, 30
	.set _ZN2at6native28tensor_kernel_scan_outer_dimIsjSt4plusIsEEEvPT_PKS4_jjjS4_T1_.num_named_barrier, 0
	.set _ZN2at6native28tensor_kernel_scan_outer_dimIsjSt4plusIsEEEvPT_PKS4_jjjS4_T1_.private_seg_size, 0
	.set _ZN2at6native28tensor_kernel_scan_outer_dimIsjSt4plusIsEEEvPT_PKS4_jjjS4_T1_.uses_vcc, 1
	.set _ZN2at6native28tensor_kernel_scan_outer_dimIsjSt4plusIsEEEvPT_PKS4_jjjS4_T1_.uses_flat_scratch, 0
	.set _ZN2at6native28tensor_kernel_scan_outer_dimIsjSt4plusIsEEEvPT_PKS4_jjjS4_T1_.has_dyn_sized_stack, 0
	.set _ZN2at6native28tensor_kernel_scan_outer_dimIsjSt4plusIsEEEvPT_PKS4_jjjS4_T1_.has_recursion, 0
	.set _ZN2at6native28tensor_kernel_scan_outer_dimIsjSt4plusIsEEEvPT_PKS4_jjjS4_T1_.has_indirect_call, 0
	.section	.AMDGPU.csdata,"",@progbits
; Kernel info:
; codeLenInByte = 316
; TotalNumSgprs: 36
; NumVgprs: 9
; NumAgprs: 0
; TotalNumVgprs: 9
; ScratchSize: 0
; MemoryBound: 0
; FloatMode: 240
; IeeeMode: 1
; LDSByteSize: 0 bytes/workgroup (compile time only)
; SGPRBlocks: 4
; VGPRBlocks: 1
; NumSGPRsForWavesPerEU: 36
; NumVGPRsForWavesPerEU: 9
; AccumOffset: 12
; Occupancy: 8
; WaveLimiterHint : 0
; COMPUTE_PGM_RSRC2:SCRATCH_EN: 0
; COMPUTE_PGM_RSRC2:USER_SGPR: 2
; COMPUTE_PGM_RSRC2:TRAP_HANDLER: 0
; COMPUTE_PGM_RSRC2:TGID_X_EN: 1
; COMPUTE_PGM_RSRC2:TGID_Y_EN: 1
; COMPUTE_PGM_RSRC2:TGID_Z_EN: 0
; COMPUTE_PGM_RSRC2:TIDIG_COMP_CNT: 0
; COMPUTE_PGM_RSRC3_GFX90A:ACCUM_OFFSET: 2
; COMPUTE_PGM_RSRC3_GFX90A:TG_SPLIT: 0
	.section	.text._ZN2at6native28tensor_kernel_scan_outer_dimIsmSt4plusIsEEEvPT_PKS4_jjjS4_T1_,"axG",@progbits,_ZN2at6native28tensor_kernel_scan_outer_dimIsmSt4plusIsEEEvPT_PKS4_jjjS4_T1_,comdat
	.protected	_ZN2at6native28tensor_kernel_scan_outer_dimIsmSt4plusIsEEEvPT_PKS4_jjjS4_T1_ ; -- Begin function _ZN2at6native28tensor_kernel_scan_outer_dimIsmSt4plusIsEEEvPT_PKS4_jjjS4_T1_
	.globl	_ZN2at6native28tensor_kernel_scan_outer_dimIsmSt4plusIsEEEvPT_PKS4_jjjS4_T1_
	.p2align	8
	.type	_ZN2at6native28tensor_kernel_scan_outer_dimIsmSt4plusIsEEEvPT_PKS4_jjjS4_T1_,@function
_ZN2at6native28tensor_kernel_scan_outer_dimIsmSt4plusIsEEEvPT_PKS4_jjjS4_T1_: ; @_ZN2at6native28tensor_kernel_scan_outer_dimIsmSt4plusIsEEEvPT_PKS4_jjjS4_T1_
; %bb.0:
	s_load_dwordx4 s[8:11], s[0:1], 0x10
	s_waitcnt lgkmcnt(0)
	s_cmp_ge_u32 s2, s8
	s_cbranch_scc1 .LBB54_9
; %bb.1:
	s_load_dword s4, s[0:1], 0x2c
	s_load_dwordx4 s[12:15], s[0:1], 0x0
	s_load_dword s26, s[0:1], 0x20
	s_add_u32 s6, s0, 32
	s_addc_u32 s7, s1, 0
	s_waitcnt lgkmcnt(0)
	s_and_b32 s27, s4, 0xffff
	s_cmp_lg_u32 s10, 0
	s_mul_i32 s3, s3, s27
	s_cselect_b64 s[20:21], -1, 0
	v_add_u32_e32 v4, s3, v0
	s_mov_b32 s5, 0
	s_mov_b32 s4, s9
	s_mul_hi_u32 s17, s10, s9
	s_mul_i32 s16, s10, s9
	v_cndmask_b32_e64 v0, 0, 1, s[20:21]
	v_cmp_gt_u32_e64 s[0:1], s9, v4
	s_lshl_b64 s[16:17], s[16:17], 1
	s_lshl_b64 s[18:19], s[4:5], 1
	v_cmp_ne_u32_e64 s[4:5], 1, v0
	v_mov_b32_e32 v1, 0
	s_branch .LBB54_3
.LBB54_2:                               ;   in Loop: Header=BB54_3 Depth=1
	s_or_b64 exec, exec, s[20:21]
	s_add_i32 s2, s2, s26
	s_cmp_ge_u32 s2, s8
	s_cbranch_scc1 .LBB54_9
.LBB54_3:                               ; =>This Loop Header: Depth=1
                                        ;     Child Loop BB54_6 Depth 2
                                        ;       Child Loop BB54_8 Depth 3
	s_and_saveexec_b64 s[20:21], s[0:1]
	s_cbranch_execz .LBB54_2
; %bb.4:                                ;   in Loop: Header=BB54_3 Depth=1
	s_load_dword s3, s[6:7], 0x4
	s_mul_i32 s23, s17, s2
	s_mul_hi_u32 s24, s16, s2
	s_mul_i32 s22, s16, s2
	s_add_i32 s23, s24, s23
	s_waitcnt lgkmcnt(0)
	s_mul_i32 s3, s3, s27
	s_mov_b64 s[24:25], 0
	v_mov_b32_e32 v0, v4
	s_branch .LBB54_6
.LBB54_5:                               ;   in Loop: Header=BB54_6 Depth=2
	v_add_u32_e32 v0, s3, v0
	v_cmp_le_u32_e32 vcc, s9, v0
	s_or_b64 s[24:25], vcc, s[24:25]
	s_andn2_b64 exec, exec, s[24:25]
	s_cbranch_execz .LBB54_2
.LBB54_6:                               ;   Parent Loop BB54_3 Depth=1
                                        ; =>  This Loop Header: Depth=2
                                        ;       Child Loop BB54_8 Depth 3
	s_and_b64 vcc, exec, s[4:5]
	s_cbranch_vccnz .LBB54_5
; %bb.7:                                ;   in Loop: Header=BB54_6 Depth=2
	v_lshl_add_u64 v[2:3], v[0:1], 1, s[22:23]
	v_mov_b32_e32 v5, s11
	s_mov_b32 s28, s10
.LBB54_8:                               ;   Parent Loop BB54_3 Depth=1
                                        ;     Parent Loop BB54_6 Depth=2
                                        ; =>    This Inner Loop Header: Depth=3
	v_lshl_add_u64 v[6:7], s[14:15], 0, v[2:3]
	global_load_ushort v8, v[6:7], off
	s_add_i32 s28, s28, -1
	v_lshl_add_u64 v[6:7], s[12:13], 0, v[2:3]
	v_lshl_add_u64 v[2:3], v[2:3], 0, s[18:19]
	s_cmp_eq_u32 s28, 0
	s_waitcnt vmcnt(0)
	v_add_u16_e32 v5, v8, v5
	global_store_short v[6:7], v5, off
	s_cbranch_scc0 .LBB54_8
	s_branch .LBB54_5
.LBB54_9:
	s_endpgm
	.section	.rodata,"a",@progbits
	.p2align	6, 0x0
	.amdhsa_kernel _ZN2at6native28tensor_kernel_scan_outer_dimIsmSt4plusIsEEEvPT_PKS4_jjjS4_T1_
		.amdhsa_group_segment_fixed_size 0
		.amdhsa_private_segment_fixed_size 0
		.amdhsa_kernarg_size 288
		.amdhsa_user_sgpr_count 2
		.amdhsa_user_sgpr_dispatch_ptr 0
		.amdhsa_user_sgpr_queue_ptr 0
		.amdhsa_user_sgpr_kernarg_segment_ptr 1
		.amdhsa_user_sgpr_dispatch_id 0
		.amdhsa_user_sgpr_kernarg_preload_length 0
		.amdhsa_user_sgpr_kernarg_preload_offset 0
		.amdhsa_user_sgpr_private_segment_size 0
		.amdhsa_uses_dynamic_stack 0
		.amdhsa_enable_private_segment 0
		.amdhsa_system_sgpr_workgroup_id_x 1
		.amdhsa_system_sgpr_workgroup_id_y 1
		.amdhsa_system_sgpr_workgroup_id_z 0
		.amdhsa_system_sgpr_workgroup_info 0
		.amdhsa_system_vgpr_workitem_id 0
		.amdhsa_next_free_vgpr 9
		.amdhsa_next_free_sgpr 29
		.amdhsa_accum_offset 12
		.amdhsa_reserve_vcc 1
		.amdhsa_float_round_mode_32 0
		.amdhsa_float_round_mode_16_64 0
		.amdhsa_float_denorm_mode_32 3
		.amdhsa_float_denorm_mode_16_64 3
		.amdhsa_dx10_clamp 1
		.amdhsa_ieee_mode 1
		.amdhsa_fp16_overflow 0
		.amdhsa_tg_split 0
		.amdhsa_exception_fp_ieee_invalid_op 0
		.amdhsa_exception_fp_denorm_src 0
		.amdhsa_exception_fp_ieee_div_zero 0
		.amdhsa_exception_fp_ieee_overflow 0
		.amdhsa_exception_fp_ieee_underflow 0
		.amdhsa_exception_fp_ieee_inexact 0
		.amdhsa_exception_int_div_zero 0
	.end_amdhsa_kernel
	.section	.text._ZN2at6native28tensor_kernel_scan_outer_dimIsmSt4plusIsEEEvPT_PKS4_jjjS4_T1_,"axG",@progbits,_ZN2at6native28tensor_kernel_scan_outer_dimIsmSt4plusIsEEEvPT_PKS4_jjjS4_T1_,comdat
.Lfunc_end54:
	.size	_ZN2at6native28tensor_kernel_scan_outer_dimIsmSt4plusIsEEEvPT_PKS4_jjjS4_T1_, .Lfunc_end54-_ZN2at6native28tensor_kernel_scan_outer_dimIsmSt4plusIsEEEvPT_PKS4_jjjS4_T1_
                                        ; -- End function
	.set _ZN2at6native28tensor_kernel_scan_outer_dimIsmSt4plusIsEEEvPT_PKS4_jjjS4_T1_.num_vgpr, 9
	.set _ZN2at6native28tensor_kernel_scan_outer_dimIsmSt4plusIsEEEvPT_PKS4_jjjS4_T1_.num_agpr, 0
	.set _ZN2at6native28tensor_kernel_scan_outer_dimIsmSt4plusIsEEEvPT_PKS4_jjjS4_T1_.numbered_sgpr, 29
	.set _ZN2at6native28tensor_kernel_scan_outer_dimIsmSt4plusIsEEEvPT_PKS4_jjjS4_T1_.num_named_barrier, 0
	.set _ZN2at6native28tensor_kernel_scan_outer_dimIsmSt4plusIsEEEvPT_PKS4_jjjS4_T1_.private_seg_size, 0
	.set _ZN2at6native28tensor_kernel_scan_outer_dimIsmSt4plusIsEEEvPT_PKS4_jjjS4_T1_.uses_vcc, 1
	.set _ZN2at6native28tensor_kernel_scan_outer_dimIsmSt4plusIsEEEvPT_PKS4_jjjS4_T1_.uses_flat_scratch, 0
	.set _ZN2at6native28tensor_kernel_scan_outer_dimIsmSt4plusIsEEEvPT_PKS4_jjjS4_T1_.has_dyn_sized_stack, 0
	.set _ZN2at6native28tensor_kernel_scan_outer_dimIsmSt4plusIsEEEvPT_PKS4_jjjS4_T1_.has_recursion, 0
	.set _ZN2at6native28tensor_kernel_scan_outer_dimIsmSt4plusIsEEEvPT_PKS4_jjjS4_T1_.has_indirect_call, 0
	.section	.AMDGPU.csdata,"",@progbits
; Kernel info:
; codeLenInByte = 316
; TotalNumSgprs: 35
; NumVgprs: 9
; NumAgprs: 0
; TotalNumVgprs: 9
; ScratchSize: 0
; MemoryBound: 0
; FloatMode: 240
; IeeeMode: 1
; LDSByteSize: 0 bytes/workgroup (compile time only)
; SGPRBlocks: 4
; VGPRBlocks: 1
; NumSGPRsForWavesPerEU: 35
; NumVGPRsForWavesPerEU: 9
; AccumOffset: 12
; Occupancy: 8
; WaveLimiterHint : 0
; COMPUTE_PGM_RSRC2:SCRATCH_EN: 0
; COMPUTE_PGM_RSRC2:USER_SGPR: 2
; COMPUTE_PGM_RSRC2:TRAP_HANDLER: 0
; COMPUTE_PGM_RSRC2:TGID_X_EN: 1
; COMPUTE_PGM_RSRC2:TGID_Y_EN: 1
; COMPUTE_PGM_RSRC2:TGID_Z_EN: 0
; COMPUTE_PGM_RSRC2:TIDIG_COMP_CNT: 0
; COMPUTE_PGM_RSRC3_GFX90A:ACCUM_OFFSET: 2
; COMPUTE_PGM_RSRC3_GFX90A:TG_SPLIT: 0
	.section	.text._ZN2at4cuda3cub15calc_block_sumsILi256ELi16ELb0EddEEvPKT2_PT3_li,"axG",@progbits,_ZN2at4cuda3cub15calc_block_sumsILi256ELi16ELb0EddEEvPKT2_PT3_li,comdat
	.protected	_ZN2at4cuda3cub15calc_block_sumsILi256ELi16ELb0EddEEvPKT2_PT3_li ; -- Begin function _ZN2at4cuda3cub15calc_block_sumsILi256ELi16ELb0EddEEvPKT2_PT3_li
	.globl	_ZN2at4cuda3cub15calc_block_sumsILi256ELi16ELb0EddEEvPKT2_PT3_li
	.p2align	8
	.type	_ZN2at4cuda3cub15calc_block_sumsILi256ELi16ELb0EddEEvPKT2_PT3_li,@function
_ZN2at4cuda3cub15calc_block_sumsILi256ELi16ELb0EddEEvPKT2_PT3_li: ; @_ZN2at4cuda3cub15calc_block_sumsILi256ELi16ELb0EddEEvPKT2_PT3_li
; %bb.0:
	s_load_dword s14, s[0:1], 0x18
	s_load_dwordx2 s[4:5], s[0:1], 0x10
	s_waitcnt lgkmcnt(0)
	s_lshl_b32 s3, s14, 12
	s_ashr_i32 s6, s3, 31
	s_mul_hi_u32 s7, s3, s2
	s_mul_i32 s6, s6, s2
	s_add_i32 s13, s7, s6
	s_mul_i32 s12, s3, s2
	s_sub_u32 s8, s4, s12
	s_subb_u32 s9, s5, s13
	v_cmp_lt_i64_e64 s[4:5], s[8:9], 1
	s_and_b64 vcc, exec, s[4:5]
	s_cbranch_vccnz .LBB55_54
; %bb.1:
	s_load_dwordx4 s[4:7], s[0:1], 0x0
	s_mov_b32 s3, 0
	s_mov_b64 s[10:11], -1
	s_cmp_gt_i32 s14, 0
	s_mov_b64 s[0:1], -1
	s_cbranch_scc1 .LBB55_3
; %bb.2:
	s_mov_b64 s[0:1], 0
.LBB55_3:
	s_andn2_b64 vcc, exec, s[0:1]
	v_mov_b64_e32 v[36:37], 0
	s_cbranch_vccnz .LBB55_52
; %bb.4:
	v_lshrrev_b32_e32 v2, 3, v0
	s_lshl_b64 s[10:11], s[12:13], 3
	v_and_b32_e32 v48, 0x78, v2
	v_mov_b32_e32 v2, 0
	s_waitcnt lgkmcnt(0)
	s_add_u32 s4, s4, s10
	v_lshlrev_b32_e32 v4, 3, v0
	v_mov_b32_e32 v5, v2
	s_addc_u32 s5, s5, s11
	v_mbcnt_lo_u32_b32 v3, -1, 0
	v_add_u32_e32 v1, 0xb00, v0
	v_or_b32_e32 v44, 0xc00, v0
	v_add_u32_e32 v45, 0xd00, v0
	v_add_u32_e32 v46, 0xe00, v0
	;; [unrolled: 1-line block ×3, first 2 shown]
	v_cmp_gt_u32_e64 s[0:1], 64, v0
	v_lshl_add_u64 v[42:43], s[4:5], 0, v[4:5]
	v_mov_b64_e32 v[36:37], 0
	v_mov_b64_e32 v[38:39], 0x1000
	s_mov_b64 s[4:5], 0x8000
	v_mbcnt_hi_u32_b32 v49, -1, v3
	v_mov_b64_e32 v[40:41], 0x1001
	s_branch .LBB55_6
.LBB55_5:                               ;   in Loop: Header=BB55_6 Depth=1
	s_add_u32 s8, s8, 0xfffff000
	s_addc_u32 s9, s9, -1
	s_add_i32 s14, s14, -1
	s_cmp_eq_u32 s14, 0
	v_lshl_add_u64 v[42:43], v[42:43], 0, s[4:5]
	s_mov_b64 s[10:11], -1
	s_cselect_b64 s[12:13], -1, 0
	s_barrier
	s_andn2_b64 vcc, exec, s[12:13]
	v_add_f64 v[36:37], v[36:37], v[4:5]
	s_cbranch_vccz .LBB55_52
.LBB55_6:                               ; =>This Inner Loop Header: Depth=1
	v_cmp_lt_i64_e32 vcc, s[8:9], v[38:39]
	s_mov_b64 s[10:11], -1
                                        ; implicit-def: $vgpr4_vgpr5
	s_cbranch_vccnz .LBB55_9
; %bb.7:                                ;   in Loop: Header=BB55_6 Depth=1
	s_and_b64 vcc, exec, s[10:11]
	s_cbranch_vccnz .LBB55_41
.LBB55_8:                               ;   in Loop: Header=BB55_6 Depth=1
	v_cmp_lt_i64_e32 vcc, s[8:9], v[40:41]
	s_cbranch_vccz .LBB55_5
	s_branch .LBB55_46
.LBB55_9:                               ;   in Loop: Header=BB55_6 Depth=1
	v_mov_b32_e32 v4, v2
	v_mov_b32_e32 v5, v2
	;; [unrolled: 1-line block ×31, first 2 shown]
	v_mov_b64_e32 v[34:35], v[32:33]
	v_cmp_gt_u32_e32 vcc, s8, v0
	v_mov_b64_e32 v[32:33], v[30:31]
	v_mov_b64_e32 v[30:31], v[28:29]
	v_mov_b64_e32 v[28:29], v[26:27]
	v_mov_b64_e32 v[26:27], v[24:25]
	v_mov_b64_e32 v[24:25], v[22:23]
	v_mov_b64_e32 v[22:23], v[20:21]
	v_mov_b64_e32 v[20:21], v[18:19]
	v_mov_b64_e32 v[18:19], v[16:17]
	v_mov_b64_e32 v[16:17], v[14:15]
	v_mov_b64_e32 v[14:15], v[12:13]
	v_mov_b64_e32 v[12:13], v[10:11]
	v_mov_b64_e32 v[10:11], v[8:9]
	v_mov_b64_e32 v[8:9], v[6:7]
	v_mov_b64_e32 v[6:7], v[4:5]
	v_mov_b64_e32 v[4:5], v[2:3]
	s_and_saveexec_b64 s[10:11], vcc
	s_cbranch_execz .LBB55_11
; %bb.10:                               ;   in Loop: Header=BB55_6 Depth=1
	global_load_dwordx2 v[4:5], v[42:43], off
	v_mov_b32_e32 v6, v2
	v_mov_b32_e32 v7, v2
	;; [unrolled: 1-line block ×30, first 2 shown]
.LBB55_11:                              ;   in Loop: Header=BB55_6 Depth=1
	s_or_b64 exec, exec, s[10:11]
	v_add_u32_e32 v3, 0x100, v0
	v_cmp_gt_u32_e32 vcc, s8, v3
	s_and_saveexec_b64 s[10:11], vcc
	s_cbranch_execz .LBB55_13
; %bb.12:                               ;   in Loop: Header=BB55_6 Depth=1
	global_load_dwordx2 v[6:7], v[42:43], off offset:2048
.LBB55_13:                              ;   in Loop: Header=BB55_6 Depth=1
	s_or_b64 exec, exec, s[10:11]
	v_add_u32_e32 v3, 0x200, v0
	v_cmp_gt_u32_e32 vcc, s8, v3
	s_and_saveexec_b64 s[10:11], vcc
	s_cbranch_execz .LBB55_15
; %bb.14:                               ;   in Loop: Header=BB55_6 Depth=1
	v_add_co_u32_e32 v8, vcc, 0x1000, v42
	s_nop 1
	v_addc_co_u32_e32 v9, vcc, 0, v43, vcc
	global_load_dwordx2 v[8:9], v[8:9], off
.LBB55_15:                              ;   in Loop: Header=BB55_6 Depth=1
	s_or_b64 exec, exec, s[10:11]
	v_add_u32_e32 v3, 0x300, v0
	v_cmp_gt_u32_e32 vcc, s8, v3
	s_and_saveexec_b64 s[10:11], vcc
	s_cbranch_execz .LBB55_17
; %bb.16:                               ;   in Loop: Header=BB55_6 Depth=1
	v_add_co_u32_e32 v10, vcc, 0x1000, v42
	s_nop 1
	v_addc_co_u32_e32 v11, vcc, 0, v43, vcc
	global_load_dwordx2 v[10:11], v[10:11], off offset:2048
.LBB55_17:                              ;   in Loop: Header=BB55_6 Depth=1
	s_or_b64 exec, exec, s[10:11]
	v_or_b32_e32 v3, 0x400, v0
	v_cmp_gt_u32_e32 vcc, s8, v3
	s_and_saveexec_b64 s[10:11], vcc
	s_cbranch_execz .LBB55_19
; %bb.18:                               ;   in Loop: Header=BB55_6 Depth=1
	v_add_co_u32_e32 v12, vcc, 0x2000, v42
	s_nop 1
	v_addc_co_u32_e32 v13, vcc, 0, v43, vcc
	global_load_dwordx2 v[12:13], v[12:13], off
.LBB55_19:                              ;   in Loop: Header=BB55_6 Depth=1
	s_or_b64 exec, exec, s[10:11]
	v_add_u32_e32 v3, 0x500, v0
	v_cmp_gt_u32_e32 vcc, s8, v3
	s_and_saveexec_b64 s[10:11], vcc
	s_cbranch_execz .LBB55_21
; %bb.20:                               ;   in Loop: Header=BB55_6 Depth=1
	v_add_co_u32_e32 v14, vcc, 0x2000, v42
	s_nop 1
	v_addc_co_u32_e32 v15, vcc, 0, v43, vcc
	global_load_dwordx2 v[14:15], v[14:15], off offset:2048
.LBB55_21:                              ;   in Loop: Header=BB55_6 Depth=1
	s_or_b64 exec, exec, s[10:11]
	v_add_u32_e32 v3, 0x600, v0
	v_cmp_gt_u32_e32 vcc, s8, v3
	s_and_saveexec_b64 s[10:11], vcc
	s_cbranch_execz .LBB55_23
; %bb.22:                               ;   in Loop: Header=BB55_6 Depth=1
	v_add_co_u32_e32 v16, vcc, 0x3000, v42
	s_nop 1
	v_addc_co_u32_e32 v17, vcc, 0, v43, vcc
	global_load_dwordx2 v[16:17], v[16:17], off
.LBB55_23:                              ;   in Loop: Header=BB55_6 Depth=1
	s_or_b64 exec, exec, s[10:11]
	v_add_u32_e32 v3, 0x700, v0
	v_cmp_gt_u32_e32 vcc, s8, v3
	s_and_saveexec_b64 s[10:11], vcc
	s_cbranch_execz .LBB55_25
; %bb.24:                               ;   in Loop: Header=BB55_6 Depth=1
	v_add_co_u32_e32 v18, vcc, 0x3000, v42
	s_nop 1
	v_addc_co_u32_e32 v19, vcc, 0, v43, vcc
	global_load_dwordx2 v[18:19], v[18:19], off offset:2048
.LBB55_25:                              ;   in Loop: Header=BB55_6 Depth=1
	s_or_b64 exec, exec, s[10:11]
	v_or_b32_e32 v3, 0x800, v0
	v_cmp_gt_u32_e32 vcc, s8, v3
	s_and_saveexec_b64 s[10:11], vcc
	s_cbranch_execz .LBB55_27
; %bb.26:                               ;   in Loop: Header=BB55_6 Depth=1
	v_add_co_u32_e32 v20, vcc, 0x4000, v42
	s_nop 1
	v_addc_co_u32_e32 v21, vcc, 0, v43, vcc
	global_load_dwordx2 v[20:21], v[20:21], off
.LBB55_27:                              ;   in Loop: Header=BB55_6 Depth=1
	s_or_b64 exec, exec, s[10:11]
	v_add_u32_e32 v3, 0x900, v0
	v_cmp_gt_u32_e32 vcc, s8, v3
	s_and_saveexec_b64 s[10:11], vcc
	s_cbranch_execz .LBB55_29
; %bb.28:                               ;   in Loop: Header=BB55_6 Depth=1
	v_add_co_u32_e32 v22, vcc, 0x4000, v42
	s_nop 1
	v_addc_co_u32_e32 v23, vcc, 0, v43, vcc
	global_load_dwordx2 v[22:23], v[22:23], off offset:2048
.LBB55_29:                              ;   in Loop: Header=BB55_6 Depth=1
	s_or_b64 exec, exec, s[10:11]
	v_add_u32_e32 v3, 0xa00, v0
	v_cmp_gt_u32_e32 vcc, s8, v3
	s_and_saveexec_b64 s[10:11], vcc
	s_cbranch_execnz .LBB55_47
; %bb.30:                               ;   in Loop: Header=BB55_6 Depth=1
	s_or_b64 exec, exec, s[10:11]
	v_cmp_gt_u32_e32 vcc, s8, v1
	s_and_saveexec_b64 s[10:11], vcc
	s_cbranch_execnz .LBB55_48
.LBB55_31:                              ;   in Loop: Header=BB55_6 Depth=1
	s_or_b64 exec, exec, s[10:11]
	v_cmp_gt_u32_e32 vcc, s8, v44
	s_and_saveexec_b64 s[10:11], vcc
	s_cbranch_execnz .LBB55_49
.LBB55_32:                              ;   in Loop: Header=BB55_6 Depth=1
	s_or_b64 exec, exec, s[10:11]
	v_cmp_gt_u32_e32 vcc, s8, v45
	s_and_saveexec_b64 s[10:11], vcc
	s_cbranch_execnz .LBB55_50
.LBB55_33:                              ;   in Loop: Header=BB55_6 Depth=1
	s_or_b64 exec, exec, s[10:11]
	v_cmp_gt_u32_e32 vcc, s8, v46
	s_and_saveexec_b64 s[10:11], vcc
	s_cbranch_execnz .LBB55_51
.LBB55_34:                              ;   in Loop: Header=BB55_6 Depth=1
	s_or_b64 exec, exec, s[10:11]
	v_cmp_gt_u32_e32 vcc, s8, v47
	s_and_saveexec_b64 s[10:11], vcc
	s_cbranch_execz .LBB55_36
.LBB55_35:                              ;   in Loop: Header=BB55_6 Depth=1
	v_add_co_u32_e32 v34, vcc, 0x7000, v42
	s_nop 1
	v_addc_co_u32_e32 v35, vcc, 0, v43, vcc
	global_load_dwordx2 v[34:35], v[34:35], off offset:2048
.LBB55_36:                              ;   in Loop: Header=BB55_6 Depth=1
	s_or_b64 exec, exec, s[10:11]
	s_waitcnt vmcnt(0)
	v_add_f64 v[4:5], v[4:5], v[6:7]
	v_add_f64 v[4:5], v[8:9], v[4:5]
	;; [unrolled: 1-line block ×15, first 2 shown]
	v_lshlrev_b32_e32 v3, 2, v49
	v_cmp_eq_u32_e32 vcc, 0, v49
	v_mov_b32_dpp v6, v4 quad_perm:[1,0,3,2] row_mask:0xf bank_mask:0xf
	v_mov_b32_dpp v7, v5 quad_perm:[1,0,3,2] row_mask:0xf bank_mask:0xf
	v_add_f64 v[4:5], v[4:5], v[6:7]
	s_barrier
	s_nop 0
	v_mov_b32_dpp v6, v4 quad_perm:[2,3,0,1] row_mask:0xf bank_mask:0xf
	v_mov_b32_dpp v7, v5 quad_perm:[2,3,0,1] row_mask:0xf bank_mask:0xf
	v_add_f64 v[4:5], v[4:5], v[6:7]
	s_nop 1
	v_mov_b32_dpp v6, v4 row_ror:4 row_mask:0xf bank_mask:0xf
	v_mov_b32_dpp v7, v5 row_ror:4 row_mask:0xf bank_mask:0xf
	v_add_f64 v[4:5], v[4:5], v[6:7]
	s_nop 1
	v_mov_b32_dpp v6, v4 row_ror:8 row_mask:0xf bank_mask:0xf
	v_mov_b32_dpp v7, v5 row_ror:8 row_mask:0xf bank_mask:0xf
	v_add_f64 v[4:5], v[4:5], v[6:7]
	s_nop 1
	v_mov_b32_dpp v6, v4 row_bcast:15 row_mask:0xf bank_mask:0xf
	v_mov_b32_dpp v7, v5 row_bcast:15 row_mask:0xf bank_mask:0xf
	v_add_f64 v[4:5], v[4:5], v[6:7]
	s_nop 1
	v_mov_b32_dpp v6, v4 row_bcast:31 row_mask:0xf bank_mask:0xf
	v_mov_b32_dpp v7, v5 row_bcast:31 row_mask:0xf bank_mask:0xf
	v_add_f64 v[4:5], v[4:5], v[6:7]
	v_or_b32_e32 v6, 0xfc, v3
	ds_bpermute_b32 v4, v6, v4
	ds_bpermute_b32 v5, v6, v5
	s_and_saveexec_b64 s[10:11], vcc
	s_cbranch_execz .LBB55_38
; %bb.37:                               ;   in Loop: Header=BB55_6 Depth=1
	s_waitcnt lgkmcnt(0)
	ds_write_b64 v48, v[4:5]
.LBB55_38:                              ;   in Loop: Header=BB55_6 Depth=1
	s_or_b64 exec, exec, s[10:11]
	s_waitcnt lgkmcnt(0)
	s_barrier
	s_and_saveexec_b64 s[10:11], s[0:1]
	s_cbranch_execz .LBB55_40
; %bb.39:                               ;   in Loop: Header=BB55_6 Depth=1
	v_and_b32_e32 v6, 3, v49
	v_lshlrev_b32_e32 v4, 3, v6
	ds_read_b64 v[4:5], v4
	v_cmp_ne_u32_e32 vcc, 3, v6
	v_or_b32_e32 v3, 8, v3
	s_nop 0
	v_addc_co_u32_e32 v6, vcc, 0, v49, vcc
	v_lshlrev_b32_e32 v7, 2, v6
	s_waitcnt lgkmcnt(0)
	ds_bpermute_b32 v6, v7, v4
	ds_bpermute_b32 v7, v7, v5
	s_waitcnt lgkmcnt(0)
	v_add_f64 v[4:5], v[4:5], v[6:7]
	ds_bpermute_b32 v6, v3, v4
	ds_bpermute_b32 v7, v3, v5
	s_waitcnt lgkmcnt(0)
	v_add_f64 v[4:5], v[4:5], v[6:7]
.LBB55_40:                              ;   in Loop: Header=BB55_6 Depth=1
	s_or_b64 exec, exec, s[10:11]
	s_branch .LBB55_8
.LBB55_41:                              ;   in Loop: Header=BB55_6 Depth=1
	global_load_dwordx2 v[4:5], v[42:43], off
	global_load_dwordx2 v[6:7], v[42:43], off offset:2048
	v_add_co_u32_e32 v8, vcc, 0x1000, v42
	v_lshlrev_b32_e32 v3, 2, v49
	s_nop 0
	v_addc_co_u32_e32 v9, vcc, 0, v43, vcc
	v_add_co_u32_e32 v10, vcc, 0x2000, v42
	s_waitcnt vmcnt(0)
	v_add_f64 v[4:5], v[4:5], v[6:7]
	v_addc_co_u32_e32 v11, vcc, 0, v43, vcc
	global_load_dwordx2 v[12:13], v[8:9], off
	global_load_dwordx2 v[14:15], v[8:9], off offset:2048
	global_load_dwordx2 v[16:17], v[10:11], off
	global_load_dwordx2 v[18:19], v[10:11], off offset:2048
	v_add_co_u32_e32 v8, vcc, 0x3000, v42
	s_waitcnt vmcnt(3)
	v_add_f64 v[4:5], v[4:5], v[12:13]
	v_addc_co_u32_e32 v9, vcc, 0, v43, vcc
	v_add_co_u32_e32 v10, vcc, 0x4000, v42
	s_waitcnt vmcnt(2)
	v_add_f64 v[4:5], v[4:5], v[14:15]
	v_addc_co_u32_e32 v11, vcc, 0, v43, vcc
	global_load_dwordx2 v[20:21], v[8:9], off
	global_load_dwordx2 v[22:23], v[8:9], off offset:2048
	global_load_dwordx2 v[24:25], v[10:11], off
	global_load_dwordx2 v[26:27], v[10:11], off offset:2048
	v_add_co_u32_e32 v8, vcc, 0x5000, v42
	s_waitcnt vmcnt(5)
	v_add_f64 v[4:5], v[4:5], v[16:17]
	;; [unrolled: 12-line block ×3, first 2 shown]
	v_addc_co_u32_e32 v9, vcc, 0, v43, vcc
	global_load_dwordx2 v[10:11], v[8:9], off
	global_load_dwordx2 v[50:51], v[8:9], off offset:2048
	s_waitcnt vmcnt(8)
	v_add_f64 v[4:5], v[4:5], v[22:23]
	s_waitcnt vmcnt(7)
	v_add_f64 v[4:5], v[4:5], v[24:25]
	;; [unrolled: 2-line block ×3, first 2 shown]
	v_or_b32_e32 v8, 0xfc, v3
	v_cmp_eq_u32_e32 vcc, 0, v49
	s_barrier
	s_waitcnt vmcnt(5)
	v_add_f64 v[4:5], v[4:5], v[28:29]
	s_waitcnt vmcnt(4)
	v_add_f64 v[4:5], v[4:5], v[30:31]
	;; [unrolled: 2-line block ×6, first 2 shown]
	s_nop 1
	v_mov_b32_dpp v6, v4 quad_perm:[1,0,3,2] row_mask:0xf bank_mask:0xf
	v_mov_b32_dpp v7, v5 quad_perm:[1,0,3,2] row_mask:0xf bank_mask:0xf
	v_add_f64 v[4:5], v[4:5], v[6:7]
	s_nop 1
	v_mov_b32_dpp v6, v4 quad_perm:[2,3,0,1] row_mask:0xf bank_mask:0xf
	v_mov_b32_dpp v7, v5 quad_perm:[2,3,0,1] row_mask:0xf bank_mask:0xf
	v_add_f64 v[4:5], v[4:5], v[6:7]
	s_nop 1
	v_mov_b32_dpp v6, v4 row_ror:4 row_mask:0xf bank_mask:0xf
	v_mov_b32_dpp v7, v5 row_ror:4 row_mask:0xf bank_mask:0xf
	v_add_f64 v[4:5], v[4:5], v[6:7]
	s_nop 1
	v_mov_b32_dpp v6, v4 row_ror:8 row_mask:0xf bank_mask:0xf
	v_mov_b32_dpp v7, v5 row_ror:8 row_mask:0xf bank_mask:0xf
	v_add_f64 v[4:5], v[4:5], v[6:7]
	s_nop 1
	v_mov_b32_dpp v6, v4 row_bcast:15 row_mask:0xf bank_mask:0xf
	v_mov_b32_dpp v7, v5 row_bcast:15 row_mask:0xf bank_mask:0xf
	v_add_f64 v[4:5], v[4:5], v[6:7]
	s_nop 1
	v_mov_b32_dpp v6, v4 row_bcast:31 row_mask:0xf bank_mask:0xf
	v_mov_b32_dpp v7, v5 row_bcast:31 row_mask:0xf bank_mask:0xf
	v_add_f64 v[4:5], v[4:5], v[6:7]
	ds_bpermute_b32 v4, v8, v4
	ds_bpermute_b32 v5, v8, v5
	s_and_saveexec_b64 s[10:11], vcc
	s_cbranch_execz .LBB55_43
; %bb.42:                               ;   in Loop: Header=BB55_6 Depth=1
	s_waitcnt lgkmcnt(0)
	ds_write_b64 v48, v[4:5]
.LBB55_43:                              ;   in Loop: Header=BB55_6 Depth=1
	s_or_b64 exec, exec, s[10:11]
	s_waitcnt lgkmcnt(0)
	s_barrier
	s_and_saveexec_b64 s[10:11], s[0:1]
	s_cbranch_execz .LBB55_45
; %bb.44:                               ;   in Loop: Header=BB55_6 Depth=1
	v_and_b32_e32 v6, 3, v49
	v_lshlrev_b32_e32 v4, 3, v6
	ds_read_b64 v[4:5], v4
	v_cmp_ne_u32_e32 vcc, 3, v6
	v_or_b32_e32 v3, 8, v3
	s_nop 0
	v_addc_co_u32_e32 v6, vcc, 0, v49, vcc
	v_lshlrev_b32_e32 v7, 2, v6
	s_waitcnt lgkmcnt(0)
	ds_bpermute_b32 v6, v7, v4
	ds_bpermute_b32 v7, v7, v5
	s_waitcnt lgkmcnt(0)
	v_add_f64 v[4:5], v[4:5], v[6:7]
	ds_bpermute_b32 v6, v3, v4
	ds_bpermute_b32 v7, v3, v5
	s_waitcnt lgkmcnt(0)
	v_add_f64 v[4:5], v[4:5], v[6:7]
.LBB55_45:                              ;   in Loop: Header=BB55_6 Depth=1
	s_or_b64 exec, exec, s[10:11]
	v_cmp_lt_i64_e32 vcc, s[8:9], v[40:41]
	s_cbranch_vccz .LBB55_5
.LBB55_46:
	s_mov_b64 s[10:11], 0
                                        ; implicit-def: $sgpr8_sgpr9
                                        ; implicit-def: $sgpr14
                                        ; implicit-def: $vgpr42_vgpr43
	v_add_f64 v[36:37], v[36:37], v[4:5]
	s_branch .LBB55_52
.LBB55_47:                              ;   in Loop: Header=BB55_6 Depth=1
	v_add_co_u32_e32 v24, vcc, 0x5000, v42
	s_nop 1
	v_addc_co_u32_e32 v25, vcc, 0, v43, vcc
	global_load_dwordx2 v[24:25], v[24:25], off
	s_or_b64 exec, exec, s[10:11]
	v_cmp_gt_u32_e32 vcc, s8, v1
	s_and_saveexec_b64 s[10:11], vcc
	s_cbranch_execz .LBB55_31
.LBB55_48:                              ;   in Loop: Header=BB55_6 Depth=1
	v_add_co_u32_e32 v26, vcc, 0x5000, v42
	s_nop 1
	v_addc_co_u32_e32 v27, vcc, 0, v43, vcc
	global_load_dwordx2 v[26:27], v[26:27], off offset:2048
	s_or_b64 exec, exec, s[10:11]
	v_cmp_gt_u32_e32 vcc, s8, v44
	s_and_saveexec_b64 s[10:11], vcc
	s_cbranch_execz .LBB55_32
.LBB55_49:                              ;   in Loop: Header=BB55_6 Depth=1
	v_add_co_u32_e32 v28, vcc, 0x6000, v42
	s_nop 1
	v_addc_co_u32_e32 v29, vcc, 0, v43, vcc
	global_load_dwordx2 v[28:29], v[28:29], off
	s_or_b64 exec, exec, s[10:11]
	v_cmp_gt_u32_e32 vcc, s8, v45
	s_and_saveexec_b64 s[10:11], vcc
	s_cbranch_execz .LBB55_33
.LBB55_50:                              ;   in Loop: Header=BB55_6 Depth=1
	v_add_co_u32_e32 v30, vcc, 0x6000, v42
	s_nop 1
	v_addc_co_u32_e32 v31, vcc, 0, v43, vcc
	global_load_dwordx2 v[30:31], v[30:31], off offset:2048
	s_or_b64 exec, exec, s[10:11]
	v_cmp_gt_u32_e32 vcc, s8, v46
	s_and_saveexec_b64 s[10:11], vcc
	s_cbranch_execz .LBB55_34
.LBB55_51:                              ;   in Loop: Header=BB55_6 Depth=1
	v_add_co_u32_e32 v32, vcc, 0x7000, v42
	s_nop 1
	v_addc_co_u32_e32 v33, vcc, 0, v43, vcc
	global_load_dwordx2 v[32:33], v[32:33], off
	s_or_b64 exec, exec, s[10:11]
	v_cmp_gt_u32_e32 vcc, s8, v47
	s_and_saveexec_b64 s[10:11], vcc
	s_cbranch_execnz .LBB55_35
	s_branch .LBB55_36
.LBB55_52:
	v_cmp_eq_u32_e32 vcc, 0, v0
	s_and_b64 s[0:1], vcc, s[10:11]
	s_waitcnt lgkmcnt(0)
	s_and_saveexec_b64 s[4:5], s[0:1]
	s_cbranch_execz .LBB55_54
; %bb.53:
	s_lshl_b64 s[0:1], s[2:3], 3
	s_add_u32 s0, s6, s0
	s_addc_u32 s1, s7, s1
	v_mov_b32_e32 v0, 0
	global_store_dwordx2 v0, v[36:37], s[0:1]
.LBB55_54:
	s_endpgm
	.section	.rodata,"a",@progbits
	.p2align	6, 0x0
	.amdhsa_kernel _ZN2at4cuda3cub15calc_block_sumsILi256ELi16ELb0EddEEvPKT2_PT3_li
		.amdhsa_group_segment_fixed_size 32
		.amdhsa_private_segment_fixed_size 0
		.amdhsa_kernarg_size 28
		.amdhsa_user_sgpr_count 2
		.amdhsa_user_sgpr_dispatch_ptr 0
		.amdhsa_user_sgpr_queue_ptr 0
		.amdhsa_user_sgpr_kernarg_segment_ptr 1
		.amdhsa_user_sgpr_dispatch_id 0
		.amdhsa_user_sgpr_kernarg_preload_length 0
		.amdhsa_user_sgpr_kernarg_preload_offset 0
		.amdhsa_user_sgpr_private_segment_size 0
		.amdhsa_uses_dynamic_stack 0
		.amdhsa_enable_private_segment 0
		.amdhsa_system_sgpr_workgroup_id_x 1
		.amdhsa_system_sgpr_workgroup_id_y 0
		.amdhsa_system_sgpr_workgroup_id_z 0
		.amdhsa_system_sgpr_workgroup_info 0
		.amdhsa_system_vgpr_workitem_id 0
		.amdhsa_next_free_vgpr 52
		.amdhsa_next_free_sgpr 15
		.amdhsa_accum_offset 52
		.amdhsa_reserve_vcc 1
		.amdhsa_float_round_mode_32 0
		.amdhsa_float_round_mode_16_64 0
		.amdhsa_float_denorm_mode_32 3
		.amdhsa_float_denorm_mode_16_64 3
		.amdhsa_dx10_clamp 1
		.amdhsa_ieee_mode 1
		.amdhsa_fp16_overflow 0
		.amdhsa_tg_split 0
		.amdhsa_exception_fp_ieee_invalid_op 0
		.amdhsa_exception_fp_denorm_src 0
		.amdhsa_exception_fp_ieee_div_zero 0
		.amdhsa_exception_fp_ieee_overflow 0
		.amdhsa_exception_fp_ieee_underflow 0
		.amdhsa_exception_fp_ieee_inexact 0
		.amdhsa_exception_int_div_zero 0
	.end_amdhsa_kernel
	.section	.text._ZN2at4cuda3cub15calc_block_sumsILi256ELi16ELb0EddEEvPKT2_PT3_li,"axG",@progbits,_ZN2at4cuda3cub15calc_block_sumsILi256ELi16ELb0EddEEvPKT2_PT3_li,comdat
.Lfunc_end55:
	.size	_ZN2at4cuda3cub15calc_block_sumsILi256ELi16ELb0EddEEvPKT2_PT3_li, .Lfunc_end55-_ZN2at4cuda3cub15calc_block_sumsILi256ELi16ELb0EddEEvPKT2_PT3_li
                                        ; -- End function
	.set _ZN2at4cuda3cub15calc_block_sumsILi256ELi16ELb0EddEEvPKT2_PT3_li.num_vgpr, 52
	.set _ZN2at4cuda3cub15calc_block_sumsILi256ELi16ELb0EddEEvPKT2_PT3_li.num_agpr, 0
	.set _ZN2at4cuda3cub15calc_block_sumsILi256ELi16ELb0EddEEvPKT2_PT3_li.numbered_sgpr, 15
	.set _ZN2at4cuda3cub15calc_block_sumsILi256ELi16ELb0EddEEvPKT2_PT3_li.num_named_barrier, 0
	.set _ZN2at4cuda3cub15calc_block_sumsILi256ELi16ELb0EddEEvPKT2_PT3_li.private_seg_size, 0
	.set _ZN2at4cuda3cub15calc_block_sumsILi256ELi16ELb0EddEEvPKT2_PT3_li.uses_vcc, 1
	.set _ZN2at4cuda3cub15calc_block_sumsILi256ELi16ELb0EddEEvPKT2_PT3_li.uses_flat_scratch, 0
	.set _ZN2at4cuda3cub15calc_block_sumsILi256ELi16ELb0EddEEvPKT2_PT3_li.has_dyn_sized_stack, 0
	.set _ZN2at4cuda3cub15calc_block_sumsILi256ELi16ELb0EddEEvPKT2_PT3_li.has_recursion, 0
	.set _ZN2at4cuda3cub15calc_block_sumsILi256ELi16ELb0EddEEvPKT2_PT3_li.has_indirect_call, 0
	.section	.AMDGPU.csdata,"",@progbits
; Kernel info:
; codeLenInByte = 2704
; TotalNumSgprs: 21
; NumVgprs: 52
; NumAgprs: 0
; TotalNumVgprs: 52
; ScratchSize: 0
; MemoryBound: 1
; FloatMode: 240
; IeeeMode: 1
; LDSByteSize: 32 bytes/workgroup (compile time only)
; SGPRBlocks: 2
; VGPRBlocks: 6
; NumSGPRsForWavesPerEU: 21
; NumVGPRsForWavesPerEU: 52
; AccumOffset: 52
; Occupancy: 8
; WaveLimiterHint : 1
; COMPUTE_PGM_RSRC2:SCRATCH_EN: 0
; COMPUTE_PGM_RSRC2:USER_SGPR: 2
; COMPUTE_PGM_RSRC2:TRAP_HANDLER: 0
; COMPUTE_PGM_RSRC2:TGID_X_EN: 1
; COMPUTE_PGM_RSRC2:TGID_Y_EN: 0
; COMPUTE_PGM_RSRC2:TGID_Z_EN: 0
; COMPUTE_PGM_RSRC2:TIDIG_COMP_CNT: 0
; COMPUTE_PGM_RSRC3_GFX90A:ACCUM_OFFSET: 12
; COMPUTE_PGM_RSRC3_GFX90A:TG_SPLIT: 0
	.section	.text._ZN2at4cuda3cub17final_scan_kernelILi256ELi16EdEEvPKT1_PS3_S6_li,"axG",@progbits,_ZN2at4cuda3cub17final_scan_kernelILi256ELi16EdEEvPKT1_PS3_S6_li,comdat
	.protected	_ZN2at4cuda3cub17final_scan_kernelILi256ELi16EdEEvPKT1_PS3_S6_li ; -- Begin function _ZN2at4cuda3cub17final_scan_kernelILi256ELi16EdEEvPKT1_PS3_S6_li
	.globl	_ZN2at4cuda3cub17final_scan_kernelILi256ELi16EdEEvPKT1_PS3_S6_li
	.p2align	8
	.type	_ZN2at4cuda3cub17final_scan_kernelILi256ELi16EdEEvPKT1_PS3_S6_li,@function
_ZN2at4cuda3cub17final_scan_kernelILi256ELi16EdEEvPKT1_PS3_S6_li: ; @_ZN2at4cuda3cub17final_scan_kernelILi256ELi16EdEEvPKT1_PS3_S6_li
; %bb.0:
	s_load_dword s33, s[0:1], 0x20
	s_load_dwordx8 s[36:43], s[0:1], 0x0
	s_waitcnt lgkmcnt(0)
	s_lshl_b32 s3, s33, 12
	s_ashr_i32 s4, s3, 31
	s_mul_hi_u32 s5, s3, s2
	s_mul_i32 s4, s4, s2
	s_add_i32 s31, s5, s4
	s_mul_i32 s30, s3, s2
	s_sub_u32 s34, s42, s30
	s_subb_u32 s35, s43, s31
	v_cmp_lt_i64_e64 s[4:5], s[34:35], 1
	s_and_b64 vcc, exec, s[4:5]
	s_cbranch_vccnz .LBB56_100
; %bb.1:
	v_cmp_gt_u32_e32 vcc, s2, v0
	v_mov_b64_e32 v[2:3], 0
	v_lshlrev_b32_e32 v82, 3, v0
	s_and_saveexec_b64 s[4:5], vcc
	s_cbranch_execz .LBB56_3
; %bb.2:
	global_load_dwordx2 v[2:3], v82, s[40:41]
.LBB56_3:
	s_or_b64 exec, exec, s[4:5]
	s_load_dword s0, s[0:1], 0x34
	s_waitcnt lgkmcnt(0)
	s_and_b32 s3, s0, 0xffff
	v_add_u32_e32 v4, s3, v0
	v_cmp_gt_u32_e32 vcc, s2, v4
	s_and_saveexec_b64 s[0:1], vcc
	s_cbranch_execz .LBB56_7
; %bb.4:
	s_mov_b64 s[4:5], 0
	v_mov_b32_e32 v5, 0
.LBB56_5:                               ; =>This Inner Loop Header: Depth=1
	v_lshl_add_u64 v[6:7], v[4:5], 3, s[40:41]
	global_load_dwordx2 v[6:7], v[6:7], off
	v_add_u32_e32 v4, s3, v4
	v_cmp_le_u32_e32 vcc, s2, v4
	s_or_b64 s[4:5], vcc, s[4:5]
	s_waitcnt vmcnt(0)
	v_add_f64 v[2:3], v[2:3], v[6:7]
	s_andn2_b64 exec, exec, s[4:5]
	s_cbranch_execnz .LBB56_5
; %bb.6:
	s_or_b64 exec, exec, s[4:5]
.LBB56_7:
	s_or_b64 exec, exec, s[0:1]
	s_waitcnt vmcnt(0)
	v_mov_b32_dpp v4, v2 quad_perm:[1,0,3,2] row_mask:0xf bank_mask:0xf
	v_mov_b32_dpp v5, v3 quad_perm:[1,0,3,2] row_mask:0xf bank_mask:0xf
	v_add_f64 v[2:3], v[2:3], v[4:5]
	v_mbcnt_lo_u32_b32 v1, -1, 0
	v_mbcnt_hi_u32_b32 v1, -1, v1
	v_mov_b32_dpp v4, v2 quad_perm:[2,3,0,1] row_mask:0xf bank_mask:0xf
	v_mov_b32_dpp v5, v3 quad_perm:[2,3,0,1] row_mask:0xf bank_mask:0xf
	v_add_f64 v[2:3], v[2:3], v[4:5]
	v_cmp_ne_u32_e64 s[0:1], 0, v1
	v_cmp_eq_u32_e64 s[2:3], 0, v1
	v_mov_b32_dpp v4, v2 row_ror:4 row_mask:0xf bank_mask:0xf
	v_mov_b32_dpp v5, v3 row_ror:4 row_mask:0xf bank_mask:0xf
	v_add_f64 v[2:3], v[2:3], v[4:5]
	s_nop 1
	v_mov_b32_dpp v4, v2 row_ror:8 row_mask:0xf bank_mask:0xf
	v_mov_b32_dpp v5, v3 row_ror:8 row_mask:0xf bank_mask:0xf
	v_add_f64 v[2:3], v[2:3], v[4:5]
	s_nop 1
	v_mov_b32_dpp v4, v2 row_bcast:15 row_mask:0xf bank_mask:0xf
	v_mov_b32_dpp v5, v3 row_bcast:15 row_mask:0xf bank_mask:0xf
	v_add_f64 v[2:3], v[2:3], v[4:5]
	s_nop 1
	v_mov_b32_dpp v4, v2 row_bcast:31 row_mask:0xf bank_mask:0xf
	v_mov_b32_dpp v5, v3 row_bcast:31 row_mask:0xf bank_mask:0xf
	v_add_f64 v[4:5], v[2:3], v[4:5]
	v_lshlrev_b32_e32 v3, 2, v1
	v_or_b32_e32 v2, 0xfc, v3
	ds_bpermute_b32 v34, v2, v4
	ds_bpermute_b32 v35, v2, v5
	s_and_saveexec_b64 s[4:5], s[2:3]
	s_cbranch_execz .LBB56_9
; %bb.8:
	v_lshrrev_b32_e32 v2, 3, v0
	v_and_b32_e32 v2, 0x78, v2
	s_waitcnt lgkmcnt(0)
	ds_write_b64 v2, v[34:35]
.LBB56_9:
	s_or_b64 exec, exec, s[4:5]
	v_cmp_lt_u32_e64 s[4:5], 63, v0
	v_cmp_gt_u32_e64 s[6:7], 64, v0
	v_and_b32_e32 v2, 3, v1
	s_waitcnt lgkmcnt(0)
	s_barrier
	s_and_saveexec_b64 s[8:9], s[6:7]
	s_cbranch_execz .LBB56_11
; %bb.10:
	v_lshlrev_b32_e32 v4, 3, v2
	ds_read_b64 v[4:5], v4
	v_cmp_ne_u32_e32 vcc, 3, v2
	v_or_b32_e32 v3, 8, v3
	s_nop 0
	v_addc_co_u32_e32 v6, vcc, 0, v1, vcc
	v_lshlrev_b32_e32 v7, 2, v6
	s_waitcnt lgkmcnt(0)
	ds_bpermute_b32 v6, v7, v4
	ds_bpermute_b32 v7, v7, v5
	s_waitcnt lgkmcnt(0)
	v_add_f64 v[4:5], v[4:5], v[6:7]
	ds_bpermute_b32 v6, v3, v4
	ds_bpermute_b32 v7, v3, v5
	s_waitcnt lgkmcnt(0)
	v_add_f64 v[34:35], v[4:5], v[6:7]
.LBB56_11:
	s_or_b64 exec, exec, s[8:9]
	s_cmp_lt_i32 s33, 1
	s_barrier
	s_cbranch_scc1 .LBB56_100
; %bb.12:
	v_lshlrev_b32_e32 v3, 4, v0
	s_movk_i32 s8, 0x3c00
	v_and_or_b32 v83, v3, s8, v1
	v_lshrrev_b32_e32 v3, 2, v83
	v_add_u32_e32 v84, 64, v83
	v_and_b32_e32 v3, 0xf18, v3
	v_lshlrev_b32_e32 v4, 3, v83
	v_add_u32_e32 v99, v3, v4
	v_lshrrev_b32_e32 v3, 2, v84
	v_or_b32_e32 v85, 0x80, v83
	v_and_b32_e32 v3, 0xf38, v3
	v_add_u32_e32 v100, v3, v4
	v_lshrrev_b32_e32 v3, 2, v85
	v_add_u32_e32 v86, 0xc0, v83
	v_and_b32_e32 v3, 0xf38, v3
	v_add_u32_e32 v101, v3, v4
	v_lshrrev_b32_e32 v3, 2, v86
	v_or_b32_e32 v87, 0x100, v83
	v_and_b32_e32 v3, 0xf78, v3
	v_add_u32_e32 v102, v3, v4
	v_lshrrev_b32_e32 v3, 2, v87
	v_add_u32_e32 v88, 0x140, v83
	v_and_b32_e32 v3, 0xf58, v3
	;; [unrolled: 8-line block ×7, first 2 shown]
	v_add_u32_e32 v113, v3, v4
	v_lshrrev_b32_e32 v3, 2, v98
	v_and_b32_e32 v3, 0x1ff8, v3
	v_add_u32_e32 v114, v3, v4
	v_and_b32_e32 v3, 0x3c0, v0
	v_add_u32_e32 v4, v1, v3
	v_min_u32_e32 v3, 0xc0, v3
	v_lshlrev_b32_e32 v5, 4, v4
	v_bfe_u32 v4, v4, 1, 27
	v_or_b32_e32 v3, 63, v3
	v_add_lshl_u32 v115, v4, v5, 3
	v_and_b32_e32 v4, 15, v1
	v_cmp_eq_u32_e64 s[20:21], v0, v3
	v_cmp_eq_u32_e64 s[24:25], 0, v2
	v_cmp_lt_u32_e64 s[26:27], 1, v2
	v_add_u32_e32 v2, -1, v1
	v_and_b32_e32 v3, 64, v1
	v_cmp_eq_u32_e64 s[8:9], 0, v4
	v_cmp_lt_u32_e64 s[10:11], 1, v4
	v_cmp_lt_u32_e64 s[12:13], 3, v4
	;; [unrolled: 1-line block ×3, first 2 shown]
	v_and_b32_e32 v4, 16, v1
	v_cmp_lt_i32_e32 vcc, v2, v3
	v_cmp_eq_u32_e64 s[16:17], 0, v4
	v_lshrrev_b32_e32 v4, 6, v0
	v_cmp_gt_u32_e64 s[22:23], 4, v0
	v_cndmask_b32_e32 v2, v2, v1, vcc
	v_cmp_eq_u32_e64 s[28:29], 0, v0
	v_mov_b32_e32 v0, 0
	v_lshlrev_b32_e32 v116, 2, v2
	v_lshlrev_b32_e32 v2, 13, v4
	v_mov_b32_e32 v3, v0
	v_lshlrev_b32_e32 v117, 3, v4
	v_lshl_add_u64 v[2:3], s[30:31], 3, v[2:3]
	v_cmp_lt_u32_e64 s[18:19], 31, v1
	v_lshlrev_b32_e32 v36, 3, v1
	v_mov_b32_e32 v37, v0
	v_lshl_add_u64 v[38:39], s[36:37], 0, v[2:3]
	v_lshl_add_u64 v[40:41], s[38:39], 0, v[2:3]
	s_mov_b64 s[36:37], 0x8000
	v_add_u32_e32 v118, -8, v117
	v_mov_b64_e32 v[42:43], 0x1000
	v_mov_b64_e32 v[44:45], 0xfff
	;; [unrolled: 1-line block ×3, first 2 shown]
	s_branch .LBB56_14
.LBB56_13:                              ;   in Loop: Header=BB56_14 Depth=1
	s_andn2_b64 vcc, exec, s[30:31]
	s_cbranch_vccz .LBB56_100
.LBB56_14:                              ; =>This Inner Loop Header: Depth=1
	v_cmp_gt_i64_e32 vcc, s[34:35], v[44:45]
	s_mov_b64 s[38:39], -1
	v_cmp_gt_u32_e64 s[30:31], s34, v83
	s_cbranch_vccnz .LBB56_33
; %bb.15:                               ;   in Loop: Header=BB56_14 Depth=1
	v_mov_b32_e32 v2, v0
	v_mov_b32_e32 v3, v0
	;; [unrolled: 1-line block ×18, first 2 shown]
	s_waitcnt lgkmcnt(0)
	v_mov_b32_e32 v20, v0
	v_mov_b32_e32 v21, v0
	v_mov_b32_e32 v22, v0
	v_mov_b32_e32 v23, v0
	v_mov_b32_e32 v24, v0
	v_mov_b32_e32 v25, v0
	v_mov_b32_e32 v26, v0
	v_mov_b32_e32 v27, v0
	v_mov_b32_e32 v28, v0
	v_mov_b32_e32 v29, v0
	v_mov_b32_e32 v30, v0
	v_mov_b32_e32 v31, v0
	v_mov_b32_e32 v1, v0
	v_mov_b64_e32 v[32:33], v[30:31]
	v_lshl_add_u64 v[48:49], v[38:39], 0, v[36:37]
	v_mov_b64_e32 v[30:31], v[28:29]
	v_mov_b64_e32 v[28:29], v[26:27]
	;; [unrolled: 1-line block ×15, first 2 shown]
	s_and_saveexec_b64 s[38:39], s[30:31]
	s_cbranch_execnz .LBB56_85
; %bb.16:                               ;   in Loop: Header=BB56_14 Depth=1
	s_or_b64 exec, exec, s[38:39]
	v_cmp_gt_u32_e32 vcc, s34, v84
	s_and_saveexec_b64 s[30:31], vcc
	s_cbranch_execnz .LBB56_86
.LBB56_17:                              ;   in Loop: Header=BB56_14 Depth=1
	s_or_b64 exec, exec, s[30:31]
	v_cmp_gt_u32_e32 vcc, s34, v85
	s_and_saveexec_b64 s[30:31], vcc
	s_cbranch_execnz .LBB56_87
.LBB56_18:                              ;   in Loop: Header=BB56_14 Depth=1
	s_or_b64 exec, exec, s[30:31]
	v_cmp_gt_u32_e32 vcc, s34, v86
	s_and_saveexec_b64 s[30:31], vcc
	s_cbranch_execnz .LBB56_88
.LBB56_19:                              ;   in Loop: Header=BB56_14 Depth=1
	s_or_b64 exec, exec, s[30:31]
	v_cmp_gt_u32_e32 vcc, s34, v87
	s_and_saveexec_b64 s[30:31], vcc
	s_cbranch_execnz .LBB56_89
.LBB56_20:                              ;   in Loop: Header=BB56_14 Depth=1
	s_or_b64 exec, exec, s[30:31]
	v_cmp_gt_u32_e32 vcc, s34, v88
	s_and_saveexec_b64 s[30:31], vcc
	s_cbranch_execnz .LBB56_90
.LBB56_21:                              ;   in Loop: Header=BB56_14 Depth=1
	s_or_b64 exec, exec, s[30:31]
	v_cmp_gt_u32_e32 vcc, s34, v89
	s_and_saveexec_b64 s[30:31], vcc
	s_cbranch_execnz .LBB56_91
.LBB56_22:                              ;   in Loop: Header=BB56_14 Depth=1
	s_or_b64 exec, exec, s[30:31]
	v_cmp_gt_u32_e32 vcc, s34, v90
	s_and_saveexec_b64 s[30:31], vcc
	s_cbranch_execnz .LBB56_92
.LBB56_23:                              ;   in Loop: Header=BB56_14 Depth=1
	s_or_b64 exec, exec, s[30:31]
	v_cmp_gt_u32_e32 vcc, s34, v91
	s_and_saveexec_b64 s[30:31], vcc
	s_cbranch_execnz .LBB56_93
.LBB56_24:                              ;   in Loop: Header=BB56_14 Depth=1
	s_or_b64 exec, exec, s[30:31]
	v_cmp_gt_u32_e32 vcc, s34, v92
	s_and_saveexec_b64 s[30:31], vcc
	s_cbranch_execnz .LBB56_94
.LBB56_25:                              ;   in Loop: Header=BB56_14 Depth=1
	s_or_b64 exec, exec, s[30:31]
	v_cmp_gt_u32_e32 vcc, s34, v93
	s_and_saveexec_b64 s[30:31], vcc
	s_cbranch_execnz .LBB56_95
.LBB56_26:                              ;   in Loop: Header=BB56_14 Depth=1
	s_or_b64 exec, exec, s[30:31]
	v_cmp_gt_u32_e32 vcc, s34, v94
	s_and_saveexec_b64 s[30:31], vcc
	s_cbranch_execnz .LBB56_96
.LBB56_27:                              ;   in Loop: Header=BB56_14 Depth=1
	s_or_b64 exec, exec, s[30:31]
	v_cmp_gt_u32_e32 vcc, s34, v95
	s_and_saveexec_b64 s[30:31], vcc
	s_cbranch_execnz .LBB56_97
.LBB56_28:                              ;   in Loop: Header=BB56_14 Depth=1
	s_or_b64 exec, exec, s[30:31]
	v_cmp_gt_u32_e32 vcc, s34, v96
	s_and_saveexec_b64 s[30:31], vcc
	s_cbranch_execnz .LBB56_98
.LBB56_29:                              ;   in Loop: Header=BB56_14 Depth=1
	s_or_b64 exec, exec, s[30:31]
	v_cmp_gt_u32_e32 vcc, s34, v97
	s_and_saveexec_b64 s[30:31], vcc
	s_cbranch_execnz .LBB56_99
.LBB56_30:                              ;   in Loop: Header=BB56_14 Depth=1
	s_or_b64 exec, exec, s[30:31]
	v_cmp_gt_u32_e32 vcc, s34, v98
	s_and_saveexec_b64 s[30:31], vcc
	s_cbranch_execz .LBB56_32
.LBB56_31:                              ;   in Loop: Header=BB56_14 Depth=1
	v_add_co_u32_e32 v32, vcc, 0x1000, v48
	s_nop 1
	v_addc_co_u32_e32 v33, vcc, 0, v49, vcc
	global_load_dwordx2 v[32:33], v[32:33], off offset:3584
.LBB56_32:                              ;   in Loop: Header=BB56_14 Depth=1
	s_or_b64 exec, exec, s[30:31]
	s_mov_b64 s[38:39], 0
	s_waitcnt vmcnt(0)
	ds_write_b64 v99, v[2:3]
	ds_write_b64 v100, v[4:5] offset:512
	ds_write_b64 v101, v[6:7] offset:1024
	;; [unrolled: 1-line block ×15, first 2 shown]
	; wave barrier
.LBB56_33:                              ;   in Loop: Header=BB56_14 Depth=1
	s_and_b64 vcc, exec, s[38:39]
	s_cbranch_vccz .LBB56_35
; %bb.34:                               ;   in Loop: Header=BB56_14 Depth=1
	v_lshl_add_u64 v[2:3], v[38:39], 0, v[36:37]
	global_load_dwordx2 v[4:5], v[2:3], off
	global_load_dwordx2 v[6:7], v[2:3], off offset:512
	global_load_dwordx2 v[8:9], v[2:3], off offset:1024
	;; [unrolled: 1-line block ×7, first 2 shown]
	v_add_co_u32_e32 v2, vcc, 0x1000, v2
	s_nop 1
	v_addc_co_u32_e32 v3, vcc, 0, v3, vcc
	s_waitcnt lgkmcnt(0)
	global_load_dwordx2 v[20:21], v[2:3], off
	global_load_dwordx2 v[22:23], v[2:3], off offset:512
	global_load_dwordx2 v[24:25], v[2:3], off offset:1024
	;; [unrolled: 1-line block ×6, first 2 shown]
	s_nop 0
	global_load_dwordx2 v[2:3], v[2:3], off offset:3584
	s_waitcnt vmcnt(15)
	ds_write_b64 v99, v[4:5]
	s_waitcnt vmcnt(14)
	ds_write_b64 v100, v[6:7] offset:512
	s_waitcnt vmcnt(13)
	ds_write_b64 v101, v[8:9] offset:1024
	;; [unrolled: 2-line block ×15, first 2 shown]
	; wave barrier
.LBB56_35:                              ;   in Loop: Header=BB56_14 Depth=1
	ds_read2_b64 v[2:5], v115 offset1:1
	ds_read2_b64 v[6:9], v115 offset0:2 offset1:3
	ds_read2_b64 v[10:13], v115 offset0:4 offset1:5
	;; [unrolled: 1-line block ×3, first 2 shown]
	s_waitcnt lgkmcnt(4)
	ds_read2_b64 v[18:21], v115 offset0:8 offset1:9
	ds_read2_b64 v[22:25], v115 offset0:10 offset1:11
	;; [unrolled: 1-line block ×4, first 2 shown]
	s_waitcnt lgkmcnt(7)
	v_add_f64 v[48:49], v[2:3], v[4:5]
	s_waitcnt lgkmcnt(6)
	v_add_f64 v[48:49], v[6:7], v[48:49]
	v_add_f64 v[48:49], v[8:9], v[48:49]
	s_waitcnt lgkmcnt(5)
	v_add_f64 v[48:49], v[10:11], v[48:49]
	;; [unrolled: 3-line block ×7, first 2 shown]
	v_add_f64 v[48:49], v[32:33], v[48:49]
	s_barrier
	s_nop 0
	v_mov_b32_dpp v50, v48 row_shr:1 row_mask:0xf bank_mask:0xf
	v_mov_b32_dpp v51, v49 row_shr:1 row_mask:0xf bank_mask:0xf
	v_add_f64 v[50:51], v[48:49], v[50:51]
	v_cndmask_b32_e64 v50, v50, v48, s[8:9]
	v_cndmask_b32_e64 v51, v51, v49, s[8:9]
	s_nop 0
	v_mov_b32_dpp v52, v50 row_shr:2 row_mask:0xf bank_mask:0xf
	v_mov_b32_dpp v53, v51 row_shr:2 row_mask:0xf bank_mask:0xf
	v_add_f64 v[52:53], v[50:51], v[52:53]
	v_cndmask_b32_e64 v50, v50, v52, s[10:11]
	v_cndmask_b32_e64 v51, v51, v53, s[10:11]
	;; [unrolled: 6-line block ×4, first 2 shown]
	s_nop 0
	v_mov_b32_dpp v52, v50 row_bcast:15 row_mask:0xf bank_mask:0xf
	v_mov_b32_dpp v53, v51 row_bcast:15 row_mask:0xf bank_mask:0xf
	v_add_f64 v[54:55], v[50:51], v[52:53]
	v_cndmask_b32_e64 v1, v55, v51, s[16:17]
	v_cndmask_b32_e64 v52, v54, v50, s[16:17]
	s_nop 0
	v_mov_b32_dpp v53, v1 row_bcast:31 row_mask:0xf bank_mask:0xf
	v_mov_b32_dpp v52, v52 row_bcast:31 row_mask:0xf bank_mask:0xf
	s_and_saveexec_b64 s[30:31], s[0:1]
; %bb.36:                               ;   in Loop: Header=BB56_14 Depth=1
	v_cndmask_b32_e64 v49, v55, v51, s[16:17]
	v_cndmask_b32_e64 v48, v54, v50, s[16:17]
	v_add_f64 v[50:51], v[48:49], v[52:53]
	v_cndmask_b32_e64 v49, v49, v51, s[18:19]
	v_cndmask_b32_e64 v48, v48, v50, s[18:19]
; %bb.37:                               ;   in Loop: Header=BB56_14 Depth=1
	s_or_b64 exec, exec, s[30:31]
	s_and_saveexec_b64 s[30:31], s[20:21]
; %bb.38:                               ;   in Loop: Header=BB56_14 Depth=1
	ds_write_b64 v117, v[48:49]
; %bb.39:                               ;   in Loop: Header=BB56_14 Depth=1
	s_or_b64 exec, exec, s[30:31]
	s_waitcnt lgkmcnt(0)
	s_barrier
	s_and_saveexec_b64 s[30:31], s[22:23]
	s_cbranch_execz .LBB56_41
; %bb.40:                               ;   in Loop: Header=BB56_14 Depth=1
	ds_read_b64 v[50:51], v82
	s_waitcnt lgkmcnt(0)
	s_nop 0
	v_mov_b32_dpp v52, v50 row_shr:1 row_mask:0xf bank_mask:0xf
	v_mov_b32_dpp v53, v51 row_shr:1 row_mask:0xf bank_mask:0xf
	v_add_f64 v[52:53], v[50:51], v[52:53]
	v_cndmask_b32_e64 v51, v53, v51, s[24:25]
	v_cndmask_b32_e64 v50, v52, v50, s[24:25]
	s_nop 0
	v_mov_b32_dpp v53, v51 row_shr:2 row_mask:0xf bank_mask:0xf
	v_mov_b32_dpp v52, v50 row_shr:2 row_mask:0xf bank_mask:0xf
	v_add_f64 v[52:53], v[50:51], v[52:53]
	v_cndmask_b32_e64 v51, v51, v53, s[26:27]
	v_cndmask_b32_e64 v50, v50, v52, s[26:27]
	ds_write_b64 v82, v[50:51]
.LBB56_41:                              ;   in Loop: Header=BB56_14 Depth=1
	s_or_b64 exec, exec, s[30:31]
	s_waitcnt lgkmcnt(0)
	s_barrier
                                        ; implicit-def: $vgpr50_vgpr51
	s_and_saveexec_b64 s[30:31], s[4:5]
	s_cbranch_execz .LBB56_43
; %bb.42:                               ;   in Loop: Header=BB56_14 Depth=1
	ds_read_b64 v[50:51], v118
	s_waitcnt lgkmcnt(0)
	v_add_f64 v[48:49], v[48:49], v[50:51]
.LBB56_43:                              ;   in Loop: Header=BB56_14 Depth=1
	s_or_b64 exec, exec, s[30:31]
	ds_bpermute_b32 v1, v116, v48
	ds_bpermute_b32 v52, v116, v49
	s_and_saveexec_b64 s[30:31], s[6:7]
	s_cbranch_execz .LBB56_47
; %bb.44:                               ;   in Loop: Header=BB56_14 Depth=1
	ds_read_b64 v[48:49], v0 offset:24
	s_and_saveexec_b64 s[38:39], s[28:29]
; %bb.45:                               ;   in Loop: Header=BB56_14 Depth=1
	ds_write_b64 v0, v[34:35] offset:24
; %bb.46:                               ;   in Loop: Header=BB56_14 Depth=1
	s_or_b64 exec, exec, s[38:39]
	s_waitcnt lgkmcnt(0)
	v_add_f64 v[34:35], v[34:35], v[48:49]
.LBB56_47:                              ;   in Loop: Header=BB56_14 Depth=1
	s_or_b64 exec, exec, s[30:31]
	s_waitcnt lgkmcnt(0)
	v_cndmask_b32_e64 v49, v52, v51, s[2:3]
	s_barrier
	ds_read_b64 v[52:53], v0 offset:24
	v_cndmask_b32_e64 v48, v1, v50, s[2:3]
	v_add_f64 v[48:49], v[2:3], v[48:49]
	v_cndmask_b32_e64 v3, v49, v3, s[28:29]
	v_cndmask_b32_e64 v2, v48, v2, s[28:29]
	s_waitcnt lgkmcnt(0)
	v_add_f64 v[60:61], v[2:3], v[52:53]
	v_add_f64 v[62:63], v[4:5], v[60:61]
	;; [unrolled: 1-line block ×14, first 2 shown]
	v_cmp_lt_i64_e32 vcc, s[34:35], v[42:43]
	v_add_f64 v[4:5], v[30:31], v[10:11]
	v_add_f64 v[6:7], v[32:33], v[4:5]
	v_lshl_add_u64 v[2:3], v[40:41], 0, v[36:37]
	s_barrier
	s_cbranch_vccz .LBB56_70
; %bb.48:                               ;   in Loop: Header=BB56_14 Depth=1
	ds_write2_b64 v115, v[60:61], v[62:63] offset1:1
	ds_write2_b64 v115, v[56:57], v[58:59] offset0:2 offset1:3
	ds_write2_b64 v115, v[52:53], v[54:55] offset0:4 offset1:5
	;; [unrolled: 1-line block ×7, first 2 shown]
	; wave barrier
	ds_read_b64 v[80:81], v99
	ds_read_b64 v[78:79], v100 offset:512
	ds_read_b64 v[76:77], v101 offset:1024
	;; [unrolled: 1-line block ×15, first 2 shown]
	v_cmp_gt_u32_e32 vcc, s34, v83
	s_and_saveexec_b64 s[30:31], vcc
	s_cbranch_execnz .LBB56_71
; %bb.49:                               ;   in Loop: Header=BB56_14 Depth=1
	s_or_b64 exec, exec, s[30:31]
	v_cmp_gt_u32_e32 vcc, s34, v84
	s_and_saveexec_b64 s[30:31], vcc
	s_cbranch_execnz .LBB56_72
.LBB56_50:                              ;   in Loop: Header=BB56_14 Depth=1
	s_or_b64 exec, exec, s[30:31]
	v_cmp_gt_u32_e32 vcc, s34, v85
	s_and_saveexec_b64 s[30:31], vcc
	s_cbranch_execnz .LBB56_73
.LBB56_51:                              ;   in Loop: Header=BB56_14 Depth=1
	s_or_b64 exec, exec, s[30:31]
	v_cmp_gt_u32_e32 vcc, s34, v86
	s_and_saveexec_b64 s[30:31], vcc
	s_cbranch_execnz .LBB56_74
.LBB56_52:                              ;   in Loop: Header=BB56_14 Depth=1
	s_or_b64 exec, exec, s[30:31]
	v_cmp_gt_u32_e32 vcc, s34, v87
	s_and_saveexec_b64 s[30:31], vcc
	s_cbranch_execnz .LBB56_75
.LBB56_53:                              ;   in Loop: Header=BB56_14 Depth=1
	s_or_b64 exec, exec, s[30:31]
	v_cmp_gt_u32_e32 vcc, s34, v88
	s_and_saveexec_b64 s[30:31], vcc
	s_cbranch_execnz .LBB56_76
.LBB56_54:                              ;   in Loop: Header=BB56_14 Depth=1
	s_or_b64 exec, exec, s[30:31]
	v_cmp_gt_u32_e32 vcc, s34, v89
	s_and_saveexec_b64 s[30:31], vcc
	s_cbranch_execnz .LBB56_77
.LBB56_55:                              ;   in Loop: Header=BB56_14 Depth=1
	s_or_b64 exec, exec, s[30:31]
	v_cmp_gt_u32_e32 vcc, s34, v90
	s_and_saveexec_b64 s[30:31], vcc
	s_cbranch_execnz .LBB56_78
.LBB56_56:                              ;   in Loop: Header=BB56_14 Depth=1
	s_or_b64 exec, exec, s[30:31]
	v_cmp_gt_u32_e32 vcc, s34, v91
	s_and_saveexec_b64 s[30:31], vcc
	s_cbranch_execnz .LBB56_79
.LBB56_57:                              ;   in Loop: Header=BB56_14 Depth=1
	s_or_b64 exec, exec, s[30:31]
	v_cmp_gt_u32_e32 vcc, s34, v92
	s_and_saveexec_b64 s[30:31], vcc
	s_cbranch_execnz .LBB56_80
.LBB56_58:                              ;   in Loop: Header=BB56_14 Depth=1
	s_or_b64 exec, exec, s[30:31]
	v_cmp_gt_u32_e32 vcc, s34, v93
	s_and_saveexec_b64 s[30:31], vcc
	s_cbranch_execnz .LBB56_81
.LBB56_59:                              ;   in Loop: Header=BB56_14 Depth=1
	s_or_b64 exec, exec, s[30:31]
	v_cmp_gt_u32_e32 vcc, s34, v94
	s_and_saveexec_b64 s[30:31], vcc
	s_cbranch_execnz .LBB56_82
.LBB56_60:                              ;   in Loop: Header=BB56_14 Depth=1
	s_or_b64 exec, exec, s[30:31]
	v_cmp_gt_u32_e32 vcc, s34, v95
	s_and_saveexec_b64 s[30:31], vcc
	s_cbranch_execnz .LBB56_83
.LBB56_61:                              ;   in Loop: Header=BB56_14 Depth=1
	s_or_b64 exec, exec, s[30:31]
	v_cmp_gt_u32_e32 vcc, s34, v96
	s_and_saveexec_b64 s[30:31], vcc
	s_cbranch_execnz .LBB56_84
.LBB56_62:                              ;   in Loop: Header=BB56_14 Depth=1
	s_or_b64 exec, exec, s[30:31]
	v_cmp_gt_u32_e32 vcc, s34, v97
	s_and_saveexec_b64 s[30:31], vcc
	s_cbranch_execz .LBB56_64
.LBB56_63:                              ;   in Loop: Header=BB56_14 Depth=1
	s_waitcnt lgkmcnt(2)
	v_add_co_u32_e32 v24, vcc, 0x1000, v2
	s_nop 1
	v_addc_co_u32_e32 v25, vcc, 0, v3, vcc
	s_waitcnt lgkmcnt(1)
	global_store_dwordx2 v[24:25], v[22:23], off offset:3072
.LBB56_64:                              ;   in Loop: Header=BB56_14 Depth=1
	s_or_b64 exec, exec, s[30:31]
	v_cmp_gt_u32_e64 s[30:31], s34, v98
	s_branch .LBB56_66
.LBB56_65:                              ;   in Loop: Header=BB56_14 Depth=1
	ds_write2_b64 v115, v[60:61], v[62:63] offset1:1
	ds_write2_b64 v115, v[56:57], v[58:59] offset0:2 offset1:3
	ds_write2_b64 v115, v[52:53], v[54:55] offset0:4 offset1:5
	;; [unrolled: 1-line block ×7, first 2 shown]
	; wave barrier
	ds_read_b64 v[4:5], v99
	ds_read_b64 v[6:7], v100 offset:512
	ds_read_b64 v[8:9], v101 offset:1024
	;; [unrolled: 1-line block ×7, first 2 shown]
	s_waitcnt lgkmcnt(14)
	ds_read_b64 v[22:23], v107 offset:4096
	ds_read_b64 v[24:25], v108 offset:4608
	;; [unrolled: 1-line block ×8, first 2 shown]
	s_waitcnt lgkmcnt(14)
	global_store_dwordx2 v[2:3], v[4:5], off
	global_store_dwordx2 v[2:3], v[6:7], off offset:512
	s_waitcnt lgkmcnt(13)
	global_store_dwordx2 v[2:3], v[8:9], off offset:1024
	s_waitcnt lgkmcnt(12)
	;; [unrolled: 2-line block ×6, first 2 shown]
	global_store_dwordx2 v[2:3], v[18:19], off offset:3584
	v_add_co_u32_e32 v4, vcc, 0x1000, v2
	s_or_b64 s[30:31], s[30:31], exec
	s_nop 0
	v_addc_co_u32_e32 v5, vcc, 0, v3, vcc
	s_waitcnt lgkmcnt(7)
	global_store_dwordx2 v[4:5], v[22:23], off
	s_waitcnt lgkmcnt(6)
	global_store_dwordx2 v[4:5], v[24:25], off offset:512
	s_waitcnt lgkmcnt(5)
	global_store_dwordx2 v[4:5], v[26:27], off offset:1024
	s_waitcnt lgkmcnt(4)
	global_store_dwordx2 v[4:5], v[28:29], off offset:1536
	s_waitcnt lgkmcnt(3)
	global_store_dwordx2 v[4:5], v[30:31], off offset:2048
	s_waitcnt lgkmcnt(2)
	global_store_dwordx2 v[4:5], v[32:33], off offset:2560
	s_waitcnt lgkmcnt(1)
	global_store_dwordx2 v[4:5], v[48:49], off offset:3072
.LBB56_66:                              ;   in Loop: Header=BB56_14 Depth=1
	s_and_saveexec_b64 s[38:39], s[30:31]
	s_cbranch_execz .LBB56_68
; %bb.67:                               ;   in Loop: Header=BB56_14 Depth=1
	v_add_co_u32_e32 v2, vcc, 0x1000, v2
	s_nop 1
	v_addc_co_u32_e32 v3, vcc, 0, v3, vcc
	s_waitcnt lgkmcnt(0)
	global_store_dwordx2 v[2:3], v[20:21], off offset:3584
.LBB56_68:                              ;   in Loop: Header=BB56_14 Depth=1
	s_or_b64 exec, exec, s[38:39]
	v_cmp_lt_i64_e32 vcc, s[34:35], v[46:47]
	s_mov_b64 s[30:31], -1
	s_cbranch_vccnz .LBB56_13
; %bb.69:                               ;   in Loop: Header=BB56_14 Depth=1
	s_add_u32 s34, s34, 0xfffff000
	s_addc_u32 s35, s35, -1
	s_add_i32 s33, s33, -1
	s_cmp_eq_u32 s33, 0
	v_lshl_add_u64 v[38:39], v[38:39], 0, s[36:37]
	v_lshl_add_u64 v[40:41], v[40:41], 0, s[36:37]
	s_cselect_b64 s[30:31], -1, 0
	s_waitcnt lgkmcnt(0)
	s_barrier
	s_branch .LBB56_13
.LBB56_70:                              ;   in Loop: Header=BB56_14 Depth=1
	s_mov_b64 s[30:31], 0
                                        ; implicit-def: $vgpr20_vgpr21
	s_cbranch_execnz .LBB56_65
	s_branch .LBB56_66
.LBB56_71:                              ;   in Loop: Header=BB56_14 Depth=1
	s_waitcnt lgkmcnt(14)
	global_store_dwordx2 v[2:3], v[80:81], off
	s_or_b64 exec, exec, s[30:31]
	v_cmp_gt_u32_e32 vcc, s34, v84
	s_and_saveexec_b64 s[30:31], vcc
	s_cbranch_execz .LBB56_50
.LBB56_72:                              ;   in Loop: Header=BB56_14 Depth=1
	s_waitcnt lgkmcnt(14)
	global_store_dwordx2 v[2:3], v[78:79], off offset:512
	s_or_b64 exec, exec, s[30:31]
	v_cmp_gt_u32_e32 vcc, s34, v85
	s_and_saveexec_b64 s[30:31], vcc
	s_cbranch_execz .LBB56_51
.LBB56_73:                              ;   in Loop: Header=BB56_14 Depth=1
	s_waitcnt lgkmcnt(13)
	global_store_dwordx2 v[2:3], v[76:77], off offset:1024
	s_or_b64 exec, exec, s[30:31]
	v_cmp_gt_u32_e32 vcc, s34, v86
	s_and_saveexec_b64 s[30:31], vcc
	s_cbranch_execz .LBB56_52
.LBB56_74:                              ;   in Loop: Header=BB56_14 Depth=1
	s_waitcnt lgkmcnt(12)
	global_store_dwordx2 v[2:3], v[74:75], off offset:1536
	s_or_b64 exec, exec, s[30:31]
	v_cmp_gt_u32_e32 vcc, s34, v87
	s_and_saveexec_b64 s[30:31], vcc
	s_cbranch_execz .LBB56_53
.LBB56_75:                              ;   in Loop: Header=BB56_14 Depth=1
	s_waitcnt lgkmcnt(11)
	global_store_dwordx2 v[2:3], v[72:73], off offset:2048
	s_or_b64 exec, exec, s[30:31]
	v_cmp_gt_u32_e32 vcc, s34, v88
	s_and_saveexec_b64 s[30:31], vcc
	s_cbranch_execz .LBB56_54
.LBB56_76:                              ;   in Loop: Header=BB56_14 Depth=1
	s_waitcnt lgkmcnt(10)
	global_store_dwordx2 v[2:3], v[70:71], off offset:2560
	s_or_b64 exec, exec, s[30:31]
	v_cmp_gt_u32_e32 vcc, s34, v89
	s_and_saveexec_b64 s[30:31], vcc
	s_cbranch_execz .LBB56_55
.LBB56_77:                              ;   in Loop: Header=BB56_14 Depth=1
	s_waitcnt lgkmcnt(9)
	global_store_dwordx2 v[2:3], v[68:69], off offset:3072
	s_or_b64 exec, exec, s[30:31]
	v_cmp_gt_u32_e32 vcc, s34, v90
	s_and_saveexec_b64 s[30:31], vcc
	s_cbranch_execz .LBB56_56
.LBB56_78:                              ;   in Loop: Header=BB56_14 Depth=1
	s_waitcnt lgkmcnt(8)
	global_store_dwordx2 v[2:3], v[66:67], off offset:3584
	s_or_b64 exec, exec, s[30:31]
	v_cmp_gt_u32_e32 vcc, s34, v91
	s_and_saveexec_b64 s[30:31], vcc
	s_cbranch_execz .LBB56_57
.LBB56_79:                              ;   in Loop: Header=BB56_14 Depth=1
	s_waitcnt lgkmcnt(8)
	v_add_co_u32_e32 v66, vcc, 0x1000, v2
	s_nop 1
	v_addc_co_u32_e32 v67, vcc, 0, v3, vcc
	s_waitcnt lgkmcnt(7)
	global_store_dwordx2 v[66:67], v[64:65], off
	s_or_b64 exec, exec, s[30:31]
	v_cmp_gt_u32_e32 vcc, s34, v92
	s_and_saveexec_b64 s[30:31], vcc
	s_cbranch_execz .LBB56_58
.LBB56_80:                              ;   in Loop: Header=BB56_14 Depth=1
	s_waitcnt lgkmcnt(7)
	v_add_co_u32_e32 v64, vcc, 0x1000, v2
	s_nop 1
	v_addc_co_u32_e32 v65, vcc, 0, v3, vcc
	s_waitcnt lgkmcnt(6)
	global_store_dwordx2 v[64:65], v[32:33], off offset:512
	s_or_b64 exec, exec, s[30:31]
	v_cmp_gt_u32_e32 vcc, s34, v93
	s_and_saveexec_b64 s[30:31], vcc
	s_cbranch_execz .LBB56_59
.LBB56_81:                              ;   in Loop: Header=BB56_14 Depth=1
	s_waitcnt lgkmcnt(6)
	v_add_co_u32_e32 v32, vcc, 0x1000, v2
	s_nop 1
	v_addc_co_u32_e32 v33, vcc, 0, v3, vcc
	s_waitcnt lgkmcnt(5)
	global_store_dwordx2 v[32:33], v[30:31], off offset:1024
	s_or_b64 exec, exec, s[30:31]
	v_cmp_gt_u32_e32 vcc, s34, v94
	s_and_saveexec_b64 s[30:31], vcc
	s_cbranch_execz .LBB56_60
.LBB56_82:                              ;   in Loop: Header=BB56_14 Depth=1
	s_waitcnt lgkmcnt(5)
	v_add_co_u32_e32 v30, vcc, 0x1000, v2
	s_nop 1
	v_addc_co_u32_e32 v31, vcc, 0, v3, vcc
	s_waitcnt lgkmcnt(4)
	global_store_dwordx2 v[30:31], v[28:29], off offset:1536
	s_or_b64 exec, exec, s[30:31]
	v_cmp_gt_u32_e32 vcc, s34, v95
	s_and_saveexec_b64 s[30:31], vcc
	s_cbranch_execz .LBB56_61
.LBB56_83:                              ;   in Loop: Header=BB56_14 Depth=1
	s_waitcnt lgkmcnt(4)
	v_add_co_u32_e32 v28, vcc, 0x1000, v2
	s_nop 1
	v_addc_co_u32_e32 v29, vcc, 0, v3, vcc
	s_waitcnt lgkmcnt(3)
	global_store_dwordx2 v[28:29], v[26:27], off offset:2048
	s_or_b64 exec, exec, s[30:31]
	v_cmp_gt_u32_e32 vcc, s34, v96
	s_and_saveexec_b64 s[30:31], vcc
	s_cbranch_execz .LBB56_62
.LBB56_84:                              ;   in Loop: Header=BB56_14 Depth=1
	s_waitcnt lgkmcnt(3)
	v_add_co_u32_e32 v26, vcc, 0x1000, v2
	s_nop 1
	v_addc_co_u32_e32 v27, vcc, 0, v3, vcc
	s_waitcnt lgkmcnt(2)
	global_store_dwordx2 v[26:27], v[24:25], off offset:2560
	s_or_b64 exec, exec, s[30:31]
	v_cmp_gt_u32_e32 vcc, s34, v97
	s_and_saveexec_b64 s[30:31], vcc
	s_cbranch_execnz .LBB56_63
	s_branch .LBB56_64
.LBB56_85:                              ;   in Loop: Header=BB56_14 Depth=1
	global_load_dwordx2 v[2:3], v[48:49], off
	v_mov_b32_e32 v4, v0
	v_mov_b32_e32 v5, v0
	;; [unrolled: 1-line block ×30, first 2 shown]
	s_or_b64 exec, exec, s[38:39]
	v_cmp_gt_u32_e32 vcc, s34, v84
	s_and_saveexec_b64 s[30:31], vcc
	s_cbranch_execz .LBB56_17
.LBB56_86:                              ;   in Loop: Header=BB56_14 Depth=1
	global_load_dwordx2 v[4:5], v[48:49], off offset:512
	s_or_b64 exec, exec, s[30:31]
	v_cmp_gt_u32_e32 vcc, s34, v85
	s_and_saveexec_b64 s[30:31], vcc
	s_cbranch_execz .LBB56_18
.LBB56_87:                              ;   in Loop: Header=BB56_14 Depth=1
	global_load_dwordx2 v[6:7], v[48:49], off offset:1024
	s_or_b64 exec, exec, s[30:31]
	v_cmp_gt_u32_e32 vcc, s34, v86
	s_and_saveexec_b64 s[30:31], vcc
	s_cbranch_execz .LBB56_19
.LBB56_88:                              ;   in Loop: Header=BB56_14 Depth=1
	global_load_dwordx2 v[8:9], v[48:49], off offset:1536
	s_or_b64 exec, exec, s[30:31]
	v_cmp_gt_u32_e32 vcc, s34, v87
	s_and_saveexec_b64 s[30:31], vcc
	s_cbranch_execz .LBB56_20
.LBB56_89:                              ;   in Loop: Header=BB56_14 Depth=1
	global_load_dwordx2 v[10:11], v[48:49], off offset:2048
	s_or_b64 exec, exec, s[30:31]
	v_cmp_gt_u32_e32 vcc, s34, v88
	s_and_saveexec_b64 s[30:31], vcc
	s_cbranch_execz .LBB56_21
.LBB56_90:                              ;   in Loop: Header=BB56_14 Depth=1
	global_load_dwordx2 v[12:13], v[48:49], off offset:2560
	s_or_b64 exec, exec, s[30:31]
	v_cmp_gt_u32_e32 vcc, s34, v89
	s_and_saveexec_b64 s[30:31], vcc
	s_cbranch_execz .LBB56_22
.LBB56_91:                              ;   in Loop: Header=BB56_14 Depth=1
	global_load_dwordx2 v[14:15], v[48:49], off offset:3072
	s_or_b64 exec, exec, s[30:31]
	v_cmp_gt_u32_e32 vcc, s34, v90
	s_and_saveexec_b64 s[30:31], vcc
	s_cbranch_execz .LBB56_23
.LBB56_92:                              ;   in Loop: Header=BB56_14 Depth=1
	global_load_dwordx2 v[16:17], v[48:49], off offset:3584
	s_or_b64 exec, exec, s[30:31]
	v_cmp_gt_u32_e32 vcc, s34, v91
	s_and_saveexec_b64 s[30:31], vcc
	s_cbranch_execz .LBB56_24
.LBB56_93:                              ;   in Loop: Header=BB56_14 Depth=1
	v_add_co_u32_e32 v18, vcc, 0x1000, v48
	s_nop 1
	v_addc_co_u32_e32 v19, vcc, 0, v49, vcc
	global_load_dwordx2 v[18:19], v[18:19], off
	s_or_b64 exec, exec, s[30:31]
	v_cmp_gt_u32_e32 vcc, s34, v92
	s_and_saveexec_b64 s[30:31], vcc
	s_cbranch_execz .LBB56_25
.LBB56_94:                              ;   in Loop: Header=BB56_14 Depth=1
	v_add_co_u32_e32 v20, vcc, 0x1000, v48
	s_nop 1
	v_addc_co_u32_e32 v21, vcc, 0, v49, vcc
	global_load_dwordx2 v[20:21], v[20:21], off offset:512
	s_or_b64 exec, exec, s[30:31]
	v_cmp_gt_u32_e32 vcc, s34, v93
	s_and_saveexec_b64 s[30:31], vcc
	s_cbranch_execz .LBB56_26
.LBB56_95:                              ;   in Loop: Header=BB56_14 Depth=1
	v_add_co_u32_e32 v22, vcc, 0x1000, v48
	s_nop 1
	v_addc_co_u32_e32 v23, vcc, 0, v49, vcc
	global_load_dwordx2 v[22:23], v[22:23], off offset:1024
	s_or_b64 exec, exec, s[30:31]
	v_cmp_gt_u32_e32 vcc, s34, v94
	s_and_saveexec_b64 s[30:31], vcc
	s_cbranch_execz .LBB56_27
.LBB56_96:                              ;   in Loop: Header=BB56_14 Depth=1
	v_add_co_u32_e32 v24, vcc, 0x1000, v48
	s_nop 1
	v_addc_co_u32_e32 v25, vcc, 0, v49, vcc
	global_load_dwordx2 v[24:25], v[24:25], off offset:1536
	s_or_b64 exec, exec, s[30:31]
	v_cmp_gt_u32_e32 vcc, s34, v95
	s_and_saveexec_b64 s[30:31], vcc
	s_cbranch_execz .LBB56_28
.LBB56_97:                              ;   in Loop: Header=BB56_14 Depth=1
	v_add_co_u32_e32 v26, vcc, 0x1000, v48
	s_nop 1
	v_addc_co_u32_e32 v27, vcc, 0, v49, vcc
	global_load_dwordx2 v[26:27], v[26:27], off offset:2048
	s_or_b64 exec, exec, s[30:31]
	v_cmp_gt_u32_e32 vcc, s34, v96
	s_and_saveexec_b64 s[30:31], vcc
	s_cbranch_execz .LBB56_29
.LBB56_98:                              ;   in Loop: Header=BB56_14 Depth=1
	v_add_co_u32_e32 v28, vcc, 0x1000, v48
	s_nop 1
	v_addc_co_u32_e32 v29, vcc, 0, v49, vcc
	global_load_dwordx2 v[28:29], v[28:29], off offset:2560
	s_or_b64 exec, exec, s[30:31]
	v_cmp_gt_u32_e32 vcc, s34, v97
	s_and_saveexec_b64 s[30:31], vcc
	s_cbranch_execz .LBB56_30
.LBB56_99:                              ;   in Loop: Header=BB56_14 Depth=1
	v_add_co_u32_e32 v30, vcc, 0x1000, v48
	s_nop 1
	v_addc_co_u32_e32 v31, vcc, 0, v49, vcc
	global_load_dwordx2 v[30:31], v[30:31], off offset:3072
	s_or_b64 exec, exec, s[30:31]
	v_cmp_gt_u32_e32 vcc, s34, v98
	s_and_saveexec_b64 s[30:31], vcc
	s_cbranch_execnz .LBB56_31
	s_branch .LBB56_32
.LBB56_100:
	s_endpgm
	.section	.rodata,"a",@progbits
	.p2align	6, 0x0
	.amdhsa_kernel _ZN2at4cuda3cub17final_scan_kernelILi256ELi16EdEEvPKT1_PS3_S6_li
		.amdhsa_group_segment_fixed_size 33792
		.amdhsa_private_segment_fixed_size 0
		.amdhsa_kernarg_size 296
		.amdhsa_user_sgpr_count 2
		.amdhsa_user_sgpr_dispatch_ptr 0
		.amdhsa_user_sgpr_queue_ptr 0
		.amdhsa_user_sgpr_kernarg_segment_ptr 1
		.amdhsa_user_sgpr_dispatch_id 0
		.amdhsa_user_sgpr_kernarg_preload_length 0
		.amdhsa_user_sgpr_kernarg_preload_offset 0
		.amdhsa_user_sgpr_private_segment_size 0
		.amdhsa_uses_dynamic_stack 0
		.amdhsa_enable_private_segment 0
		.amdhsa_system_sgpr_workgroup_id_x 1
		.amdhsa_system_sgpr_workgroup_id_y 0
		.amdhsa_system_sgpr_workgroup_id_z 0
		.amdhsa_system_sgpr_workgroup_info 0
		.amdhsa_system_vgpr_workitem_id 0
		.amdhsa_next_free_vgpr 119
		.amdhsa_next_free_sgpr 44
		.amdhsa_accum_offset 120
		.amdhsa_reserve_vcc 1
		.amdhsa_float_round_mode_32 0
		.amdhsa_float_round_mode_16_64 0
		.amdhsa_float_denorm_mode_32 3
		.amdhsa_float_denorm_mode_16_64 3
		.amdhsa_dx10_clamp 1
		.amdhsa_ieee_mode 1
		.amdhsa_fp16_overflow 0
		.amdhsa_tg_split 0
		.amdhsa_exception_fp_ieee_invalid_op 0
		.amdhsa_exception_fp_denorm_src 0
		.amdhsa_exception_fp_ieee_div_zero 0
		.amdhsa_exception_fp_ieee_overflow 0
		.amdhsa_exception_fp_ieee_underflow 0
		.amdhsa_exception_fp_ieee_inexact 0
		.amdhsa_exception_int_div_zero 0
	.end_amdhsa_kernel
	.section	.text._ZN2at4cuda3cub17final_scan_kernelILi256ELi16EdEEvPKT1_PS3_S6_li,"axG",@progbits,_ZN2at4cuda3cub17final_scan_kernelILi256ELi16EdEEvPKT1_PS3_S6_li,comdat
.Lfunc_end56:
	.size	_ZN2at4cuda3cub17final_scan_kernelILi256ELi16EdEEvPKT1_PS3_S6_li, .Lfunc_end56-_ZN2at4cuda3cub17final_scan_kernelILi256ELi16EdEEvPKT1_PS3_S6_li
                                        ; -- End function
	.set _ZN2at4cuda3cub17final_scan_kernelILi256ELi16EdEEvPKT1_PS3_S6_li.num_vgpr, 119
	.set _ZN2at4cuda3cub17final_scan_kernelILi256ELi16EdEEvPKT1_PS3_S6_li.num_agpr, 0
	.set _ZN2at4cuda3cub17final_scan_kernelILi256ELi16EdEEvPKT1_PS3_S6_li.numbered_sgpr, 44
	.set _ZN2at4cuda3cub17final_scan_kernelILi256ELi16EdEEvPKT1_PS3_S6_li.num_named_barrier, 0
	.set _ZN2at4cuda3cub17final_scan_kernelILi256ELi16EdEEvPKT1_PS3_S6_li.private_seg_size, 0
	.set _ZN2at4cuda3cub17final_scan_kernelILi256ELi16EdEEvPKT1_PS3_S6_li.uses_vcc, 1
	.set _ZN2at4cuda3cub17final_scan_kernelILi256ELi16EdEEvPKT1_PS3_S6_li.uses_flat_scratch, 0
	.set _ZN2at4cuda3cub17final_scan_kernelILi256ELi16EdEEvPKT1_PS3_S6_li.has_dyn_sized_stack, 0
	.set _ZN2at4cuda3cub17final_scan_kernelILi256ELi16EdEEvPKT1_PS3_S6_li.has_recursion, 0
	.set _ZN2at4cuda3cub17final_scan_kernelILi256ELi16EdEEvPKT1_PS3_S6_li.has_indirect_call, 0
	.section	.AMDGPU.csdata,"",@progbits
; Kernel info:
; codeLenInByte = 5312
; TotalNumSgprs: 50
; NumVgprs: 119
; NumAgprs: 0
; TotalNumVgprs: 119
; ScratchSize: 0
; MemoryBound: 1
; FloatMode: 240
; IeeeMode: 1
; LDSByteSize: 33792 bytes/workgroup (compile time only)
; SGPRBlocks: 6
; VGPRBlocks: 14
; NumSGPRsForWavesPerEU: 50
; NumVGPRsForWavesPerEU: 119
; AccumOffset: 120
; Occupancy: 4
; WaveLimiterHint : 1
; COMPUTE_PGM_RSRC2:SCRATCH_EN: 0
; COMPUTE_PGM_RSRC2:USER_SGPR: 2
; COMPUTE_PGM_RSRC2:TRAP_HANDLER: 0
; COMPUTE_PGM_RSRC2:TGID_X_EN: 1
; COMPUTE_PGM_RSRC2:TGID_Y_EN: 0
; COMPUTE_PGM_RSRC2:TGID_Z_EN: 0
; COMPUTE_PGM_RSRC2:TIDIG_COMP_CNT: 0
; COMPUTE_PGM_RSRC3_GFX90A:ACCUM_OFFSET: 29
; COMPUTE_PGM_RSRC3_GFX90A:TG_SPLIT: 0
	.section	.text._ZN7rocprim17ROCPRIM_304000_NS6detail31init_lookback_scan_state_kernelINS1_19lookback_scan_stateIdLb1ELb1EEEEEvT_jjPNS5_10value_typeE,"axG",@progbits,_ZN7rocprim17ROCPRIM_304000_NS6detail31init_lookback_scan_state_kernelINS1_19lookback_scan_stateIdLb1ELb1EEEEEvT_jjPNS5_10value_typeE,comdat
	.protected	_ZN7rocprim17ROCPRIM_304000_NS6detail31init_lookback_scan_state_kernelINS1_19lookback_scan_stateIdLb1ELb1EEEEEvT_jjPNS5_10value_typeE ; -- Begin function _ZN7rocprim17ROCPRIM_304000_NS6detail31init_lookback_scan_state_kernelINS1_19lookback_scan_stateIdLb1ELb1EEEEEvT_jjPNS5_10value_typeE
	.globl	_ZN7rocprim17ROCPRIM_304000_NS6detail31init_lookback_scan_state_kernelINS1_19lookback_scan_stateIdLb1ELb1EEEEEvT_jjPNS5_10value_typeE
	.p2align	8
	.type	_ZN7rocprim17ROCPRIM_304000_NS6detail31init_lookback_scan_state_kernelINS1_19lookback_scan_stateIdLb1ELb1EEEEEvT_jjPNS5_10value_typeE,@function
_ZN7rocprim17ROCPRIM_304000_NS6detail31init_lookback_scan_state_kernelINS1_19lookback_scan_stateIdLb1ELb1EEEEEvT_jjPNS5_10value_typeE: ; @_ZN7rocprim17ROCPRIM_304000_NS6detail31init_lookback_scan_state_kernelINS1_19lookback_scan_stateIdLb1ELb1EEEEEvT_jjPNS5_10value_typeE
; %bb.0:
	s_load_dword s3, s[0:1], 0x24
	s_load_dwordx2 s[8:9], s[0:1], 0x10
	s_load_dwordx4 s[4:7], s[0:1], 0x0
	s_waitcnt lgkmcnt(0)
	s_and_b32 s0, s3, 0xffff
	s_mul_i32 s2, s2, s0
	s_cmp_eq_u64 s[8:9], 0
	v_add_u32_e32 v0, s2, v0
	s_cbranch_scc1 .LBB57_10
; %bb.1:
	s_cmp_lt_u32 s7, s6
	s_cselect_b32 s0, s7, 0
	s_mov_b32 s3, 0
	v_cmp_eq_u32_e32 vcc, s0, v0
	s_and_saveexec_b64 s[0:1], vcc
	s_cbranch_execz .LBB57_9
; %bb.2:
	s_add_i32 s2, s7, 64
	s_lshl_b64 s[2:3], s[2:3], 4
	s_add_u32 s12, s4, s2
	s_addc_u32 s13, s5, s3
	v_mov_b64_e32 v[2:3], s[12:13]
	;;#ASMSTART
	global_load_dwordx4 v[2:5], v[2:3] off sc1	
s_waitcnt vmcnt(0)
	;;#ASMEND
	v_mov_b32_e32 v7, 0
	v_and_b32_e32 v6, 0xff, v4
	s_mov_b64 s[10:11], 0
	v_cmp_eq_u64_e32 vcc, 0, v[6:7]
	s_and_saveexec_b64 s[2:3], vcc
	s_cbranch_execz .LBB57_8
; %bb.3:
	s_mov_b32 s7, 1
	v_mov_b64_e32 v[8:9], s[12:13]
.LBB57_4:                               ; =>This Loop Header: Depth=1
                                        ;     Child Loop BB57_5 Depth 2
	s_mov_b32 s12, s7
.LBB57_5:                               ;   Parent Loop BB57_4 Depth=1
                                        ; =>  This Inner Loop Header: Depth=2
	s_add_i32 s12, s12, -1
	s_cmp_eq_u32 s12, 0
	s_sleep 1
	s_cbranch_scc0 .LBB57_5
; %bb.6:                                ;   in Loop: Header=BB57_4 Depth=1
	s_cmp_lt_u32 s7, 32
	s_cselect_b64 s[12:13], -1, 0
	s_cmp_lg_u64 s[12:13], 0
	;;#ASMSTART
	global_load_dwordx4 v[2:5], v[8:9] off sc1	
s_waitcnt vmcnt(0)
	;;#ASMEND
	s_addc_u32 s7, s7, 0
	v_and_b32_e32 v6, 0xff, v4
	v_cmp_ne_u64_e32 vcc, 0, v[6:7]
	s_or_b64 s[10:11], vcc, s[10:11]
	s_andn2_b64 exec, exec, s[10:11]
	s_cbranch_execnz .LBB57_4
; %bb.7:
	s_or_b64 exec, exec, s[10:11]
.LBB57_8:
	s_or_b64 exec, exec, s[2:3]
	v_mov_b32_e32 v1, 0
	global_store_dwordx2 v1, v[2:3], s[8:9]
.LBB57_9:
	s_or_b64 exec, exec, s[0:1]
.LBB57_10:
	v_cmp_gt_u32_e32 vcc, s6, v0
	s_and_saveexec_b64 s[0:1], vcc
	s_cbranch_execnz .LBB57_13
; %bb.11:
	s_or_b64 exec, exec, s[0:1]
	v_cmp_gt_u32_e32 vcc, 64, v0
	s_and_saveexec_b64 s[0:1], vcc
	s_cbranch_execnz .LBB57_14
.LBB57_12:
	s_endpgm
.LBB57_13:
	v_add_u32_e32 v2, 64, v0
	v_mov_b32_e32 v3, 0
	v_lshl_add_u64 v[6:7], v[2:3], 4, s[4:5]
	v_mov_b32_e32 v2, v3
	v_mov_b32_e32 v4, v3
	;; [unrolled: 1-line block ×3, first 2 shown]
	global_store_dwordx4 v[6:7], v[2:5], off
	s_or_b64 exec, exec, s[0:1]
	v_cmp_gt_u32_e32 vcc, 64, v0
	s_and_saveexec_b64 s[0:1], vcc
	s_cbranch_execz .LBB57_12
.LBB57_14:
	v_mov_b32_e32 v1, 0
	v_lshl_add_u64 v[4:5], v[0:1], 4, s[4:5]
	v_mov_b32_e32 v2, 0xff
	v_mov_b32_e32 v0, v1
	;; [unrolled: 1-line block ×3, first 2 shown]
	global_store_dwordx4 v[4:5], v[0:3], off
	s_endpgm
	.section	.rodata,"a",@progbits
	.p2align	6, 0x0
	.amdhsa_kernel _ZN7rocprim17ROCPRIM_304000_NS6detail31init_lookback_scan_state_kernelINS1_19lookback_scan_stateIdLb1ELb1EEEEEvT_jjPNS5_10value_typeE
		.amdhsa_group_segment_fixed_size 0
		.amdhsa_private_segment_fixed_size 0
		.amdhsa_kernarg_size 280
		.amdhsa_user_sgpr_count 2
		.amdhsa_user_sgpr_dispatch_ptr 0
		.amdhsa_user_sgpr_queue_ptr 0
		.amdhsa_user_sgpr_kernarg_segment_ptr 1
		.amdhsa_user_sgpr_dispatch_id 0
		.amdhsa_user_sgpr_kernarg_preload_length 0
		.amdhsa_user_sgpr_kernarg_preload_offset 0
		.amdhsa_user_sgpr_private_segment_size 0
		.amdhsa_uses_dynamic_stack 0
		.amdhsa_enable_private_segment 0
		.amdhsa_system_sgpr_workgroup_id_x 1
		.amdhsa_system_sgpr_workgroup_id_y 0
		.amdhsa_system_sgpr_workgroup_id_z 0
		.amdhsa_system_sgpr_workgroup_info 0
		.amdhsa_system_vgpr_workitem_id 0
		.amdhsa_next_free_vgpr 10
		.amdhsa_next_free_sgpr 14
		.amdhsa_accum_offset 12
		.amdhsa_reserve_vcc 1
		.amdhsa_float_round_mode_32 0
		.amdhsa_float_round_mode_16_64 0
		.amdhsa_float_denorm_mode_32 3
		.amdhsa_float_denorm_mode_16_64 3
		.amdhsa_dx10_clamp 1
		.amdhsa_ieee_mode 1
		.amdhsa_fp16_overflow 0
		.amdhsa_tg_split 0
		.amdhsa_exception_fp_ieee_invalid_op 0
		.amdhsa_exception_fp_denorm_src 0
		.amdhsa_exception_fp_ieee_div_zero 0
		.amdhsa_exception_fp_ieee_overflow 0
		.amdhsa_exception_fp_ieee_underflow 0
		.amdhsa_exception_fp_ieee_inexact 0
		.amdhsa_exception_int_div_zero 0
	.end_amdhsa_kernel
	.section	.text._ZN7rocprim17ROCPRIM_304000_NS6detail31init_lookback_scan_state_kernelINS1_19lookback_scan_stateIdLb1ELb1EEEEEvT_jjPNS5_10value_typeE,"axG",@progbits,_ZN7rocprim17ROCPRIM_304000_NS6detail31init_lookback_scan_state_kernelINS1_19lookback_scan_stateIdLb1ELb1EEEEEvT_jjPNS5_10value_typeE,comdat
.Lfunc_end57:
	.size	_ZN7rocprim17ROCPRIM_304000_NS6detail31init_lookback_scan_state_kernelINS1_19lookback_scan_stateIdLb1ELb1EEEEEvT_jjPNS5_10value_typeE, .Lfunc_end57-_ZN7rocprim17ROCPRIM_304000_NS6detail31init_lookback_scan_state_kernelINS1_19lookback_scan_stateIdLb1ELb1EEEEEvT_jjPNS5_10value_typeE
                                        ; -- End function
	.set _ZN7rocprim17ROCPRIM_304000_NS6detail31init_lookback_scan_state_kernelINS1_19lookback_scan_stateIdLb1ELb1EEEEEvT_jjPNS5_10value_typeE.num_vgpr, 10
	.set _ZN7rocprim17ROCPRIM_304000_NS6detail31init_lookback_scan_state_kernelINS1_19lookback_scan_stateIdLb1ELb1EEEEEvT_jjPNS5_10value_typeE.num_agpr, 0
	.set _ZN7rocprim17ROCPRIM_304000_NS6detail31init_lookback_scan_state_kernelINS1_19lookback_scan_stateIdLb1ELb1EEEEEvT_jjPNS5_10value_typeE.numbered_sgpr, 14
	.set _ZN7rocprim17ROCPRIM_304000_NS6detail31init_lookback_scan_state_kernelINS1_19lookback_scan_stateIdLb1ELb1EEEEEvT_jjPNS5_10value_typeE.num_named_barrier, 0
	.set _ZN7rocprim17ROCPRIM_304000_NS6detail31init_lookback_scan_state_kernelINS1_19lookback_scan_stateIdLb1ELb1EEEEEvT_jjPNS5_10value_typeE.private_seg_size, 0
	.set _ZN7rocprim17ROCPRIM_304000_NS6detail31init_lookback_scan_state_kernelINS1_19lookback_scan_stateIdLb1ELb1EEEEEvT_jjPNS5_10value_typeE.uses_vcc, 1
	.set _ZN7rocprim17ROCPRIM_304000_NS6detail31init_lookback_scan_state_kernelINS1_19lookback_scan_stateIdLb1ELb1EEEEEvT_jjPNS5_10value_typeE.uses_flat_scratch, 0
	.set _ZN7rocprim17ROCPRIM_304000_NS6detail31init_lookback_scan_state_kernelINS1_19lookback_scan_stateIdLb1ELb1EEEEEvT_jjPNS5_10value_typeE.has_dyn_sized_stack, 0
	.set _ZN7rocprim17ROCPRIM_304000_NS6detail31init_lookback_scan_state_kernelINS1_19lookback_scan_stateIdLb1ELb1EEEEEvT_jjPNS5_10value_typeE.has_recursion, 0
	.set _ZN7rocprim17ROCPRIM_304000_NS6detail31init_lookback_scan_state_kernelINS1_19lookback_scan_stateIdLb1ELb1EEEEEvT_jjPNS5_10value_typeE.has_indirect_call, 0
	.section	.AMDGPU.csdata,"",@progbits
; Kernel info:
; codeLenInByte = 404
; TotalNumSgprs: 20
; NumVgprs: 10
; NumAgprs: 0
; TotalNumVgprs: 10
; ScratchSize: 0
; MemoryBound: 0
; FloatMode: 240
; IeeeMode: 1
; LDSByteSize: 0 bytes/workgroup (compile time only)
; SGPRBlocks: 2
; VGPRBlocks: 1
; NumSGPRsForWavesPerEU: 20
; NumVGPRsForWavesPerEU: 10
; AccumOffset: 12
; Occupancy: 8
; WaveLimiterHint : 0
; COMPUTE_PGM_RSRC2:SCRATCH_EN: 0
; COMPUTE_PGM_RSRC2:USER_SGPR: 2
; COMPUTE_PGM_RSRC2:TRAP_HANDLER: 0
; COMPUTE_PGM_RSRC2:TGID_X_EN: 1
; COMPUTE_PGM_RSRC2:TGID_Y_EN: 0
; COMPUTE_PGM_RSRC2:TGID_Z_EN: 0
; COMPUTE_PGM_RSRC2:TIDIG_COMP_CNT: 0
; COMPUTE_PGM_RSRC3_GFX90A:ACCUM_OFFSET: 2
; COMPUTE_PGM_RSRC3_GFX90A:TG_SPLIT: 0
	.section	.text._ZN7rocprim17ROCPRIM_304000_NS6detail31init_lookback_scan_state_kernelINS1_19lookback_scan_stateIdLb0ELb1EEEEEvT_jjPNS5_10value_typeE,"axG",@progbits,_ZN7rocprim17ROCPRIM_304000_NS6detail31init_lookback_scan_state_kernelINS1_19lookback_scan_stateIdLb0ELb1EEEEEvT_jjPNS5_10value_typeE,comdat
	.protected	_ZN7rocprim17ROCPRIM_304000_NS6detail31init_lookback_scan_state_kernelINS1_19lookback_scan_stateIdLb0ELb1EEEEEvT_jjPNS5_10value_typeE ; -- Begin function _ZN7rocprim17ROCPRIM_304000_NS6detail31init_lookback_scan_state_kernelINS1_19lookback_scan_stateIdLb0ELb1EEEEEvT_jjPNS5_10value_typeE
	.globl	_ZN7rocprim17ROCPRIM_304000_NS6detail31init_lookback_scan_state_kernelINS1_19lookback_scan_stateIdLb0ELb1EEEEEvT_jjPNS5_10value_typeE
	.p2align	8
	.type	_ZN7rocprim17ROCPRIM_304000_NS6detail31init_lookback_scan_state_kernelINS1_19lookback_scan_stateIdLb0ELb1EEEEEvT_jjPNS5_10value_typeE,@function
_ZN7rocprim17ROCPRIM_304000_NS6detail31init_lookback_scan_state_kernelINS1_19lookback_scan_stateIdLb0ELb1EEEEEvT_jjPNS5_10value_typeE: ; @_ZN7rocprim17ROCPRIM_304000_NS6detail31init_lookback_scan_state_kernelINS1_19lookback_scan_stateIdLb0ELb1EEEEEvT_jjPNS5_10value_typeE
; %bb.0:
	s_load_dword s3, s[0:1], 0x24
	s_load_dwordx2 s[8:9], s[0:1], 0x10
	s_load_dwordx4 s[4:7], s[0:1], 0x0
	s_waitcnt lgkmcnt(0)
	s_and_b32 s0, s3, 0xffff
	s_mul_i32 s2, s2, s0
	s_cmp_eq_u64 s[8:9], 0
	v_add_u32_e32 v0, s2, v0
	s_cbranch_scc1 .LBB58_8
; %bb.1:
	s_cmp_lt_u32 s7, s6
	s_cselect_b32 s0, s7, 0
	s_mov_b32 s3, 0
	v_cmp_eq_u32_e32 vcc, s0, v0
	s_and_saveexec_b64 s[0:1], vcc
	s_cbranch_execz .LBB58_7
; %bb.2:
	s_add_i32 s2, s7, 64
	s_lshl_b64 s[2:3], s[2:3], 4
	s_add_u32 s12, s4, s2
	s_addc_u32 s13, s5, s3
	v_mov_b64_e32 v[2:3], s[12:13]
	;;#ASMSTART
	global_load_dwordx4 v[2:5], v[2:3] off sc1	
s_waitcnt vmcnt(0)
	;;#ASMEND
	v_mov_b32_e32 v7, 0
	v_and_b32_e32 v6, 0xff, v4
	s_mov_b64 s[10:11], 0
	v_cmp_eq_u64_e32 vcc, 0, v[6:7]
	s_and_saveexec_b64 s[2:3], vcc
	s_cbranch_execz .LBB58_6
; %bb.3:
	v_mov_b64_e32 v[8:9], s[12:13]
.LBB58_4:                               ; =>This Inner Loop Header: Depth=1
	;;#ASMSTART
	global_load_dwordx4 v[2:5], v[8:9] off sc1	
s_waitcnt vmcnt(0)
	;;#ASMEND
	s_nop 0
	v_and_b32_e32 v6, 0xff, v4
	v_cmp_ne_u64_e32 vcc, 0, v[6:7]
	s_or_b64 s[10:11], vcc, s[10:11]
	s_andn2_b64 exec, exec, s[10:11]
	s_cbranch_execnz .LBB58_4
; %bb.5:
	s_or_b64 exec, exec, s[10:11]
.LBB58_6:
	s_or_b64 exec, exec, s[2:3]
	v_mov_b32_e32 v1, 0
	global_store_dwordx2 v1, v[2:3], s[8:9]
.LBB58_7:
	s_or_b64 exec, exec, s[0:1]
.LBB58_8:
	v_cmp_gt_u32_e32 vcc, s6, v0
	s_and_saveexec_b64 s[0:1], vcc
	s_cbranch_execnz .LBB58_11
; %bb.9:
	s_or_b64 exec, exec, s[0:1]
	v_cmp_gt_u32_e32 vcc, 64, v0
	s_and_saveexec_b64 s[0:1], vcc
	s_cbranch_execnz .LBB58_12
.LBB58_10:
	s_endpgm
.LBB58_11:
	v_add_u32_e32 v2, 64, v0
	v_mov_b32_e32 v3, 0
	v_lshl_add_u64 v[6:7], v[2:3], 4, s[4:5]
	v_mov_b32_e32 v2, v3
	v_mov_b32_e32 v4, v3
	;; [unrolled: 1-line block ×3, first 2 shown]
	global_store_dwordx4 v[6:7], v[2:5], off
	s_or_b64 exec, exec, s[0:1]
	v_cmp_gt_u32_e32 vcc, 64, v0
	s_and_saveexec_b64 s[0:1], vcc
	s_cbranch_execz .LBB58_10
.LBB58_12:
	v_mov_b32_e32 v1, 0
	v_lshl_add_u64 v[4:5], v[0:1], 4, s[4:5]
	v_mov_b32_e32 v2, 0xff
	v_mov_b32_e32 v0, v1
	;; [unrolled: 1-line block ×3, first 2 shown]
	global_store_dwordx4 v[4:5], v[0:3], off
	s_endpgm
	.section	.rodata,"a",@progbits
	.p2align	6, 0x0
	.amdhsa_kernel _ZN7rocprim17ROCPRIM_304000_NS6detail31init_lookback_scan_state_kernelINS1_19lookback_scan_stateIdLb0ELb1EEEEEvT_jjPNS5_10value_typeE
		.amdhsa_group_segment_fixed_size 0
		.amdhsa_private_segment_fixed_size 0
		.amdhsa_kernarg_size 280
		.amdhsa_user_sgpr_count 2
		.amdhsa_user_sgpr_dispatch_ptr 0
		.amdhsa_user_sgpr_queue_ptr 0
		.amdhsa_user_sgpr_kernarg_segment_ptr 1
		.amdhsa_user_sgpr_dispatch_id 0
		.amdhsa_user_sgpr_kernarg_preload_length 0
		.amdhsa_user_sgpr_kernarg_preload_offset 0
		.amdhsa_user_sgpr_private_segment_size 0
		.amdhsa_uses_dynamic_stack 0
		.amdhsa_enable_private_segment 0
		.amdhsa_system_sgpr_workgroup_id_x 1
		.amdhsa_system_sgpr_workgroup_id_y 0
		.amdhsa_system_sgpr_workgroup_id_z 0
		.amdhsa_system_sgpr_workgroup_info 0
		.amdhsa_system_vgpr_workitem_id 0
		.amdhsa_next_free_vgpr 10
		.amdhsa_next_free_sgpr 14
		.amdhsa_accum_offset 12
		.amdhsa_reserve_vcc 1
		.amdhsa_float_round_mode_32 0
		.amdhsa_float_round_mode_16_64 0
		.amdhsa_float_denorm_mode_32 3
		.amdhsa_float_denorm_mode_16_64 3
		.amdhsa_dx10_clamp 1
		.amdhsa_ieee_mode 1
		.amdhsa_fp16_overflow 0
		.amdhsa_tg_split 0
		.amdhsa_exception_fp_ieee_invalid_op 0
		.amdhsa_exception_fp_denorm_src 0
		.amdhsa_exception_fp_ieee_div_zero 0
		.amdhsa_exception_fp_ieee_overflow 0
		.amdhsa_exception_fp_ieee_underflow 0
		.amdhsa_exception_fp_ieee_inexact 0
		.amdhsa_exception_int_div_zero 0
	.end_amdhsa_kernel
	.section	.text._ZN7rocprim17ROCPRIM_304000_NS6detail31init_lookback_scan_state_kernelINS1_19lookback_scan_stateIdLb0ELb1EEEEEvT_jjPNS5_10value_typeE,"axG",@progbits,_ZN7rocprim17ROCPRIM_304000_NS6detail31init_lookback_scan_state_kernelINS1_19lookback_scan_stateIdLb0ELb1EEEEEvT_jjPNS5_10value_typeE,comdat
.Lfunc_end58:
	.size	_ZN7rocprim17ROCPRIM_304000_NS6detail31init_lookback_scan_state_kernelINS1_19lookback_scan_stateIdLb0ELb1EEEEEvT_jjPNS5_10value_typeE, .Lfunc_end58-_ZN7rocprim17ROCPRIM_304000_NS6detail31init_lookback_scan_state_kernelINS1_19lookback_scan_stateIdLb0ELb1EEEEEvT_jjPNS5_10value_typeE
                                        ; -- End function
	.set _ZN7rocprim17ROCPRIM_304000_NS6detail31init_lookback_scan_state_kernelINS1_19lookback_scan_stateIdLb0ELb1EEEEEvT_jjPNS5_10value_typeE.num_vgpr, 10
	.set _ZN7rocprim17ROCPRIM_304000_NS6detail31init_lookback_scan_state_kernelINS1_19lookback_scan_stateIdLb0ELb1EEEEEvT_jjPNS5_10value_typeE.num_agpr, 0
	.set _ZN7rocprim17ROCPRIM_304000_NS6detail31init_lookback_scan_state_kernelINS1_19lookback_scan_stateIdLb0ELb1EEEEEvT_jjPNS5_10value_typeE.numbered_sgpr, 14
	.set _ZN7rocprim17ROCPRIM_304000_NS6detail31init_lookback_scan_state_kernelINS1_19lookback_scan_stateIdLb0ELb1EEEEEvT_jjPNS5_10value_typeE.num_named_barrier, 0
	.set _ZN7rocprim17ROCPRIM_304000_NS6detail31init_lookback_scan_state_kernelINS1_19lookback_scan_stateIdLb0ELb1EEEEEvT_jjPNS5_10value_typeE.private_seg_size, 0
	.set _ZN7rocprim17ROCPRIM_304000_NS6detail31init_lookback_scan_state_kernelINS1_19lookback_scan_stateIdLb0ELb1EEEEEvT_jjPNS5_10value_typeE.uses_vcc, 1
	.set _ZN7rocprim17ROCPRIM_304000_NS6detail31init_lookback_scan_state_kernelINS1_19lookback_scan_stateIdLb0ELb1EEEEEvT_jjPNS5_10value_typeE.uses_flat_scratch, 0
	.set _ZN7rocprim17ROCPRIM_304000_NS6detail31init_lookback_scan_state_kernelINS1_19lookback_scan_stateIdLb0ELb1EEEEEvT_jjPNS5_10value_typeE.has_dyn_sized_stack, 0
	.set _ZN7rocprim17ROCPRIM_304000_NS6detail31init_lookback_scan_state_kernelINS1_19lookback_scan_stateIdLb0ELb1EEEEEvT_jjPNS5_10value_typeE.has_recursion, 0
	.set _ZN7rocprim17ROCPRIM_304000_NS6detail31init_lookback_scan_state_kernelINS1_19lookback_scan_stateIdLb0ELb1EEEEEvT_jjPNS5_10value_typeE.has_indirect_call, 0
	.section	.AMDGPU.csdata,"",@progbits
; Kernel info:
; codeLenInByte = 368
; TotalNumSgprs: 20
; NumVgprs: 10
; NumAgprs: 0
; TotalNumVgprs: 10
; ScratchSize: 0
; MemoryBound: 0
; FloatMode: 240
; IeeeMode: 1
; LDSByteSize: 0 bytes/workgroup (compile time only)
; SGPRBlocks: 2
; VGPRBlocks: 1
; NumSGPRsForWavesPerEU: 20
; NumVGPRsForWavesPerEU: 10
; AccumOffset: 12
; Occupancy: 8
; WaveLimiterHint : 0
; COMPUTE_PGM_RSRC2:SCRATCH_EN: 0
; COMPUTE_PGM_RSRC2:USER_SGPR: 2
; COMPUTE_PGM_RSRC2:TRAP_HANDLER: 0
; COMPUTE_PGM_RSRC2:TGID_X_EN: 1
; COMPUTE_PGM_RSRC2:TGID_Y_EN: 0
; COMPUTE_PGM_RSRC2:TGID_Z_EN: 0
; COMPUTE_PGM_RSRC2:TIDIG_COMP_CNT: 0
; COMPUTE_PGM_RSRC3_GFX90A:ACCUM_OFFSET: 2
; COMPUTE_PGM_RSRC3_GFX90A:TG_SPLIT: 0
	.section	.text._ZN7rocprim17ROCPRIM_304000_NS6detail20lookback_scan_kernelILNS1_25lookback_scan_determinismE0ELb0ENS1_19wrapped_scan_configINS0_14default_configEdEEPKdPdSt4plusIdEddNS1_19lookback_scan_stateIdLb1ELb1EEEEEvT2_T3_mT5_T4_T7_jPT6_SK_bb,"axG",@progbits,_ZN7rocprim17ROCPRIM_304000_NS6detail20lookback_scan_kernelILNS1_25lookback_scan_determinismE0ELb0ENS1_19wrapped_scan_configINS0_14default_configEdEEPKdPdSt4plusIdEddNS1_19lookback_scan_stateIdLb1ELb1EEEEEvT2_T3_mT5_T4_T7_jPT6_SK_bb,comdat
	.protected	_ZN7rocprim17ROCPRIM_304000_NS6detail20lookback_scan_kernelILNS1_25lookback_scan_determinismE0ELb0ENS1_19wrapped_scan_configINS0_14default_configEdEEPKdPdSt4plusIdEddNS1_19lookback_scan_stateIdLb1ELb1EEEEEvT2_T3_mT5_T4_T7_jPT6_SK_bb ; -- Begin function _ZN7rocprim17ROCPRIM_304000_NS6detail20lookback_scan_kernelILNS1_25lookback_scan_determinismE0ELb0ENS1_19wrapped_scan_configINS0_14default_configEdEEPKdPdSt4plusIdEddNS1_19lookback_scan_stateIdLb1ELb1EEEEEvT2_T3_mT5_T4_T7_jPT6_SK_bb
	.globl	_ZN7rocprim17ROCPRIM_304000_NS6detail20lookback_scan_kernelILNS1_25lookback_scan_determinismE0ELb0ENS1_19wrapped_scan_configINS0_14default_configEdEEPKdPdSt4plusIdEddNS1_19lookback_scan_stateIdLb1ELb1EEEEEvT2_T3_mT5_T4_T7_jPT6_SK_bb
	.p2align	8
	.type	_ZN7rocprim17ROCPRIM_304000_NS6detail20lookback_scan_kernelILNS1_25lookback_scan_determinismE0ELb0ENS1_19wrapped_scan_configINS0_14default_configEdEEPKdPdSt4plusIdEddNS1_19lookback_scan_stateIdLb1ELb1EEEEEvT2_T3_mT5_T4_T7_jPT6_SK_bb,@function
_ZN7rocprim17ROCPRIM_304000_NS6detail20lookback_scan_kernelILNS1_25lookback_scan_determinismE0ELb0ENS1_19wrapped_scan_configINS0_14default_configEdEEPKdPdSt4plusIdEddNS1_19lookback_scan_stateIdLb1ELb1EEEEEvT2_T3_mT5_T4_T7_jPT6_SK_bb: ; @_ZN7rocprim17ROCPRIM_304000_NS6detail20lookback_scan_kernelILNS1_25lookback_scan_determinismE0ELb0ENS1_19wrapped_scan_configINS0_14default_configEdEEPKdPdSt4plusIdEddNS1_19lookback_scan_stateIdLb1ELb1EEEEEvT2_T3_mT5_T4_T7_jPT6_SK_bb
; %bb.0:
	s_endpgm
	.section	.rodata,"a",@progbits
	.p2align	6, 0x0
	.amdhsa_kernel _ZN7rocprim17ROCPRIM_304000_NS6detail20lookback_scan_kernelILNS1_25lookback_scan_determinismE0ELb0ENS1_19wrapped_scan_configINS0_14default_configEdEEPKdPdSt4plusIdEddNS1_19lookback_scan_stateIdLb1ELb1EEEEEvT2_T3_mT5_T4_T7_jPT6_SK_bb
		.amdhsa_group_segment_fixed_size 0
		.amdhsa_private_segment_fixed_size 0
		.amdhsa_kernarg_size 76
		.amdhsa_user_sgpr_count 2
		.amdhsa_user_sgpr_dispatch_ptr 0
		.amdhsa_user_sgpr_queue_ptr 0
		.amdhsa_user_sgpr_kernarg_segment_ptr 1
		.amdhsa_user_sgpr_dispatch_id 0
		.amdhsa_user_sgpr_kernarg_preload_length 0
		.amdhsa_user_sgpr_kernarg_preload_offset 0
		.amdhsa_user_sgpr_private_segment_size 0
		.amdhsa_uses_dynamic_stack 0
		.amdhsa_enable_private_segment 0
		.amdhsa_system_sgpr_workgroup_id_x 1
		.amdhsa_system_sgpr_workgroup_id_y 0
		.amdhsa_system_sgpr_workgroup_id_z 0
		.amdhsa_system_sgpr_workgroup_info 0
		.amdhsa_system_vgpr_workitem_id 0
		.amdhsa_next_free_vgpr 1
		.amdhsa_next_free_sgpr 0
		.amdhsa_accum_offset 4
		.amdhsa_reserve_vcc 0
		.amdhsa_float_round_mode_32 0
		.amdhsa_float_round_mode_16_64 0
		.amdhsa_float_denorm_mode_32 3
		.amdhsa_float_denorm_mode_16_64 3
		.amdhsa_dx10_clamp 1
		.amdhsa_ieee_mode 1
		.amdhsa_fp16_overflow 0
		.amdhsa_tg_split 0
		.amdhsa_exception_fp_ieee_invalid_op 0
		.amdhsa_exception_fp_denorm_src 0
		.amdhsa_exception_fp_ieee_div_zero 0
		.amdhsa_exception_fp_ieee_overflow 0
		.amdhsa_exception_fp_ieee_underflow 0
		.amdhsa_exception_fp_ieee_inexact 0
		.amdhsa_exception_int_div_zero 0
	.end_amdhsa_kernel
	.section	.text._ZN7rocprim17ROCPRIM_304000_NS6detail20lookback_scan_kernelILNS1_25lookback_scan_determinismE0ELb0ENS1_19wrapped_scan_configINS0_14default_configEdEEPKdPdSt4plusIdEddNS1_19lookback_scan_stateIdLb1ELb1EEEEEvT2_T3_mT5_T4_T7_jPT6_SK_bb,"axG",@progbits,_ZN7rocprim17ROCPRIM_304000_NS6detail20lookback_scan_kernelILNS1_25lookback_scan_determinismE0ELb0ENS1_19wrapped_scan_configINS0_14default_configEdEEPKdPdSt4plusIdEddNS1_19lookback_scan_stateIdLb1ELb1EEEEEvT2_T3_mT5_T4_T7_jPT6_SK_bb,comdat
.Lfunc_end59:
	.size	_ZN7rocprim17ROCPRIM_304000_NS6detail20lookback_scan_kernelILNS1_25lookback_scan_determinismE0ELb0ENS1_19wrapped_scan_configINS0_14default_configEdEEPKdPdSt4plusIdEddNS1_19lookback_scan_stateIdLb1ELb1EEEEEvT2_T3_mT5_T4_T7_jPT6_SK_bb, .Lfunc_end59-_ZN7rocprim17ROCPRIM_304000_NS6detail20lookback_scan_kernelILNS1_25lookback_scan_determinismE0ELb0ENS1_19wrapped_scan_configINS0_14default_configEdEEPKdPdSt4plusIdEddNS1_19lookback_scan_stateIdLb1ELb1EEEEEvT2_T3_mT5_T4_T7_jPT6_SK_bb
                                        ; -- End function
	.set _ZN7rocprim17ROCPRIM_304000_NS6detail20lookback_scan_kernelILNS1_25lookback_scan_determinismE0ELb0ENS1_19wrapped_scan_configINS0_14default_configEdEEPKdPdSt4plusIdEddNS1_19lookback_scan_stateIdLb1ELb1EEEEEvT2_T3_mT5_T4_T7_jPT6_SK_bb.num_vgpr, 0
	.set _ZN7rocprim17ROCPRIM_304000_NS6detail20lookback_scan_kernelILNS1_25lookback_scan_determinismE0ELb0ENS1_19wrapped_scan_configINS0_14default_configEdEEPKdPdSt4plusIdEddNS1_19lookback_scan_stateIdLb1ELb1EEEEEvT2_T3_mT5_T4_T7_jPT6_SK_bb.num_agpr, 0
	.set _ZN7rocprim17ROCPRIM_304000_NS6detail20lookback_scan_kernelILNS1_25lookback_scan_determinismE0ELb0ENS1_19wrapped_scan_configINS0_14default_configEdEEPKdPdSt4plusIdEddNS1_19lookback_scan_stateIdLb1ELb1EEEEEvT2_T3_mT5_T4_T7_jPT6_SK_bb.numbered_sgpr, 0
	.set _ZN7rocprim17ROCPRIM_304000_NS6detail20lookback_scan_kernelILNS1_25lookback_scan_determinismE0ELb0ENS1_19wrapped_scan_configINS0_14default_configEdEEPKdPdSt4plusIdEddNS1_19lookback_scan_stateIdLb1ELb1EEEEEvT2_T3_mT5_T4_T7_jPT6_SK_bb.num_named_barrier, 0
	.set _ZN7rocprim17ROCPRIM_304000_NS6detail20lookback_scan_kernelILNS1_25lookback_scan_determinismE0ELb0ENS1_19wrapped_scan_configINS0_14default_configEdEEPKdPdSt4plusIdEddNS1_19lookback_scan_stateIdLb1ELb1EEEEEvT2_T3_mT5_T4_T7_jPT6_SK_bb.private_seg_size, 0
	.set _ZN7rocprim17ROCPRIM_304000_NS6detail20lookback_scan_kernelILNS1_25lookback_scan_determinismE0ELb0ENS1_19wrapped_scan_configINS0_14default_configEdEEPKdPdSt4plusIdEddNS1_19lookback_scan_stateIdLb1ELb1EEEEEvT2_T3_mT5_T4_T7_jPT6_SK_bb.uses_vcc, 0
	.set _ZN7rocprim17ROCPRIM_304000_NS6detail20lookback_scan_kernelILNS1_25lookback_scan_determinismE0ELb0ENS1_19wrapped_scan_configINS0_14default_configEdEEPKdPdSt4plusIdEddNS1_19lookback_scan_stateIdLb1ELb1EEEEEvT2_T3_mT5_T4_T7_jPT6_SK_bb.uses_flat_scratch, 0
	.set _ZN7rocprim17ROCPRIM_304000_NS6detail20lookback_scan_kernelILNS1_25lookback_scan_determinismE0ELb0ENS1_19wrapped_scan_configINS0_14default_configEdEEPKdPdSt4plusIdEddNS1_19lookback_scan_stateIdLb1ELb1EEEEEvT2_T3_mT5_T4_T7_jPT6_SK_bb.has_dyn_sized_stack, 0
	.set _ZN7rocprim17ROCPRIM_304000_NS6detail20lookback_scan_kernelILNS1_25lookback_scan_determinismE0ELb0ENS1_19wrapped_scan_configINS0_14default_configEdEEPKdPdSt4plusIdEddNS1_19lookback_scan_stateIdLb1ELb1EEEEEvT2_T3_mT5_T4_T7_jPT6_SK_bb.has_recursion, 0
	.set _ZN7rocprim17ROCPRIM_304000_NS6detail20lookback_scan_kernelILNS1_25lookback_scan_determinismE0ELb0ENS1_19wrapped_scan_configINS0_14default_configEdEEPKdPdSt4plusIdEddNS1_19lookback_scan_stateIdLb1ELb1EEEEEvT2_T3_mT5_T4_T7_jPT6_SK_bb.has_indirect_call, 0
	.section	.AMDGPU.csdata,"",@progbits
; Kernel info:
; codeLenInByte = 4
; TotalNumSgprs: 6
; NumVgprs: 0
; NumAgprs: 0
; TotalNumVgprs: 0
; ScratchSize: 0
; MemoryBound: 0
; FloatMode: 240
; IeeeMode: 1
; LDSByteSize: 0 bytes/workgroup (compile time only)
; SGPRBlocks: 0
; VGPRBlocks: 0
; NumSGPRsForWavesPerEU: 6
; NumVGPRsForWavesPerEU: 1
; AccumOffset: 4
; Occupancy: 8
; WaveLimiterHint : 0
; COMPUTE_PGM_RSRC2:SCRATCH_EN: 0
; COMPUTE_PGM_RSRC2:USER_SGPR: 2
; COMPUTE_PGM_RSRC2:TRAP_HANDLER: 0
; COMPUTE_PGM_RSRC2:TGID_X_EN: 1
; COMPUTE_PGM_RSRC2:TGID_Y_EN: 0
; COMPUTE_PGM_RSRC2:TGID_Z_EN: 0
; COMPUTE_PGM_RSRC2:TIDIG_COMP_CNT: 0
; COMPUTE_PGM_RSRC3_GFX90A:ACCUM_OFFSET: 0
; COMPUTE_PGM_RSRC3_GFX90A:TG_SPLIT: 0
	.section	.text._ZN7rocprim17ROCPRIM_304000_NS6detail20lookback_scan_kernelILNS1_25lookback_scan_determinismE0ELb0ENS1_19wrapped_scan_configINS0_14default_configEdEEPKdPdSt4plusIdEddNS1_19lookback_scan_stateIdLb0ELb1EEEEEvT2_T3_mT5_T4_T7_jPT6_SK_bb,"axG",@progbits,_ZN7rocprim17ROCPRIM_304000_NS6detail20lookback_scan_kernelILNS1_25lookback_scan_determinismE0ELb0ENS1_19wrapped_scan_configINS0_14default_configEdEEPKdPdSt4plusIdEddNS1_19lookback_scan_stateIdLb0ELb1EEEEEvT2_T3_mT5_T4_T7_jPT6_SK_bb,comdat
	.protected	_ZN7rocprim17ROCPRIM_304000_NS6detail20lookback_scan_kernelILNS1_25lookback_scan_determinismE0ELb0ENS1_19wrapped_scan_configINS0_14default_configEdEEPKdPdSt4plusIdEddNS1_19lookback_scan_stateIdLb0ELb1EEEEEvT2_T3_mT5_T4_T7_jPT6_SK_bb ; -- Begin function _ZN7rocprim17ROCPRIM_304000_NS6detail20lookback_scan_kernelILNS1_25lookback_scan_determinismE0ELb0ENS1_19wrapped_scan_configINS0_14default_configEdEEPKdPdSt4plusIdEddNS1_19lookback_scan_stateIdLb0ELb1EEEEEvT2_T3_mT5_T4_T7_jPT6_SK_bb
	.globl	_ZN7rocprim17ROCPRIM_304000_NS6detail20lookback_scan_kernelILNS1_25lookback_scan_determinismE0ELb0ENS1_19wrapped_scan_configINS0_14default_configEdEEPKdPdSt4plusIdEddNS1_19lookback_scan_stateIdLb0ELb1EEEEEvT2_T3_mT5_T4_T7_jPT6_SK_bb
	.p2align	8
	.type	_ZN7rocprim17ROCPRIM_304000_NS6detail20lookback_scan_kernelILNS1_25lookback_scan_determinismE0ELb0ENS1_19wrapped_scan_configINS0_14default_configEdEEPKdPdSt4plusIdEddNS1_19lookback_scan_stateIdLb0ELb1EEEEEvT2_T3_mT5_T4_T7_jPT6_SK_bb,@function
_ZN7rocprim17ROCPRIM_304000_NS6detail20lookback_scan_kernelILNS1_25lookback_scan_determinismE0ELb0ENS1_19wrapped_scan_configINS0_14default_configEdEEPKdPdSt4plusIdEddNS1_19lookback_scan_stateIdLb0ELb1EEEEEvT2_T3_mT5_T4_T7_jPT6_SK_bb: ; @_ZN7rocprim17ROCPRIM_304000_NS6detail20lookback_scan_kernelILNS1_25lookback_scan_determinismE0ELb0ENS1_19wrapped_scan_configINS0_14default_configEdEEPKdPdSt4plusIdEddNS1_19lookback_scan_stateIdLb0ELb1EEEEEvT2_T3_mT5_T4_T7_jPT6_SK_bb
; %bb.0:
	s_load_dword s3, s[0:1], 0x30
	s_load_dwordx4 s[20:23], s[0:1], 0x0
	s_load_dwordx2 s[4:5], s[0:1], 0x10
	s_mul_i32 s6, s2, 0x600
	s_mov_b32 s7, 0
	s_waitcnt lgkmcnt(0)
	s_add_i32 s3, s3, -1
	s_mul_i32 s8, s3, 0x600
	s_sub_u32 s28, s4, s8
	s_subb_u32 s29, s5, 0
	s_cmp_lg_u32 s2, s3
	s_cselect_b64 s[24:25], -1, 0
	s_lshl_b64 s[26:27], s[6:7], 3
	s_add_u32 s6, s20, s26
	s_addc_u32 s7, s21, s27
	s_mov_b64 s[4:5], -1
	s_and_b64 vcc, exec, s[24:25]
	v_lshlrev_b32_e32 v26, 3, v0
	s_cbranch_vccz .LBB60_2
; %bb.1:
	v_mov_b32_e32 v27, 0
	v_lshl_add_u64 v[2:3], s[6:7], 0, v[26:27]
	v_add_co_u32_e32 v8, vcc, 0x1000, v2
	global_load_dwordx2 v[4:5], v26, s[6:7]
	global_load_dwordx2 v[6:7], v26, s[6:7] offset:2048
	v_addc_co_u32_e32 v9, vcc, 0, v3, vcc
	v_add_co_u32_e32 v2, vcc, 0x2000, v2
	s_mov_b64 s[4:5], 0
	s_nop 0
	v_addc_co_u32_e32 v3, vcc, 0, v3, vcc
	global_load_dwordx2 v[10:11], v[8:9], off
	global_load_dwordx2 v[12:13], v[8:9], off offset:2048
	global_load_dwordx2 v[14:15], v[2:3], off
	global_load_dwordx2 v[16:17], v[2:3], off offset:2048
	s_waitcnt vmcnt(4)
	ds_write2st64_b64 v26, v[4:5], v[6:7] offset1:4
	s_waitcnt vmcnt(2)
	ds_write2st64_b64 v26, v[10:11], v[12:13] offset0:8 offset1:12
	s_waitcnt vmcnt(0)
	ds_write2st64_b64 v26, v[14:15], v[16:17] offset0:16 offset1:20
	s_waitcnt lgkmcnt(0)
	s_barrier
.LBB60_2:
	s_andn2_b64 vcc, exec, s[4:5]
	v_cmp_gt_u32_e64 s[4:5], s28, v0
	s_cbranch_vccnz .LBB60_16
; %bb.3:
	s_load_dwordx2 s[8:9], s[6:7], 0x0
	v_mov_b32_e32 v27, 0
	v_lshl_add_u64 v[18:19], s[6:7], 0, v[26:27]
	s_waitcnt lgkmcnt(0)
	s_mov_b32 s10, s8
	s_mov_b32 s11, s9
	s_mov_b32 s12, s8
	s_mov_b32 s13, s9
	s_mov_b32 s14, s8
	s_mov_b32 s15, s9
	s_mov_b32 s16, s8
	s_mov_b32 s17, s9
	s_mov_b32 s18, s8
	s_mov_b32 s19, s9
	v_mov_b64_e32 v[2:3], s[8:9]
	v_mov_b64_e32 v[4:5], s[10:11]
	;; [unrolled: 1-line block ×8, first 2 shown]
	s_and_saveexec_b64 s[6:7], s[4:5]
	s_cbranch_execz .LBB60_5
; %bb.4:
	global_load_dwordx2 v[2:3], v[18:19], off
	v_mov_b32_e32 v4, s8
	v_mov_b32_e32 v5, s9
	;; [unrolled: 1-line block ×10, first 2 shown]
.LBB60_5:
	s_or_b64 exec, exec, s[6:7]
	v_or_b32_e32 v1, 0x100, v0
	v_cmp_gt_u32_e32 vcc, s28, v1
	s_and_saveexec_b64 s[4:5], vcc
	s_cbranch_execz .LBB60_7
; %bb.6:
	global_load_dwordx2 v[4:5], v[18:19], off offset:2048
.LBB60_7:
	s_or_b64 exec, exec, s[4:5]
	v_or_b32_e32 v1, 0x200, v0
	v_cmp_gt_u32_e32 vcc, s28, v1
	s_and_saveexec_b64 s[4:5], vcc
	s_cbranch_execz .LBB60_9
; %bb.8:
	v_add_co_u32_e32 v6, vcc, 0x1000, v18
	s_nop 1
	v_addc_co_u32_e32 v7, vcc, 0, v19, vcc
	global_load_dwordx2 v[6:7], v[6:7], off
.LBB60_9:
	s_or_b64 exec, exec, s[4:5]
	v_or_b32_e32 v1, 0x300, v0
	v_cmp_gt_u32_e32 vcc, s28, v1
	s_and_saveexec_b64 s[4:5], vcc
	s_cbranch_execz .LBB60_11
; %bb.10:
	v_add_co_u32_e32 v8, vcc, 0x1000, v18
	s_nop 1
	v_addc_co_u32_e32 v9, vcc, 0, v19, vcc
	global_load_dwordx2 v[8:9], v[8:9], off offset:2048
.LBB60_11:
	s_or_b64 exec, exec, s[4:5]
	v_or_b32_e32 v1, 0x400, v0
	v_cmp_gt_u32_e32 vcc, s28, v1
	s_and_saveexec_b64 s[4:5], vcc
	s_cbranch_execz .LBB60_13
; %bb.12:
	v_add_co_u32_e32 v10, vcc, 0x2000, v18
	s_nop 1
	v_addc_co_u32_e32 v11, vcc, 0, v19, vcc
	global_load_dwordx2 v[10:11], v[10:11], off
.LBB60_13:
	s_or_b64 exec, exec, s[4:5]
	v_or_b32_e32 v1, 0x500, v0
	v_cmp_gt_u32_e32 vcc, s28, v1
	s_and_saveexec_b64 s[4:5], vcc
	s_cbranch_execz .LBB60_15
; %bb.14:
	v_add_co_u32_e32 v12, vcc, 0x2000, v18
	s_nop 1
	v_addc_co_u32_e32 v13, vcc, 0, v19, vcc
	global_load_dwordx2 v[12:13], v[12:13], off offset:2048
.LBB60_15:
	s_or_b64 exec, exec, s[4:5]
	s_waitcnt vmcnt(0)
	ds_write2st64_b64 v26, v[2:3], v[4:5] offset1:4
	ds_write2st64_b64 v26, v[6:7], v[8:9] offset0:8 offset1:12
	ds_write2st64_b64 v26, v[10:11], v[12:13] offset0:16 offset1:20
	s_waitcnt lgkmcnt(0)
	s_barrier
.LBB60_16:
	v_mul_u32_u24_e32 v1, 48, v0
	ds_read_b128 v[2:5], v1
	ds_read_b128 v[10:13], v1 offset:16
	ds_read_b128 v[6:9], v1 offset:32
	s_load_dwordx2 s[8:9], s[0:1], 0x28
	s_cmp_lg_u32 s2, 0
	v_lshrrev_b32_e32 v27, 2, v0
	v_cmp_gt_u32_e32 vcc, 64, v0
	s_waitcnt lgkmcnt(0)
	s_barrier
	s_cbranch_scc0 .LBB60_36
; %bb.17:
	v_add_f64 v[14:15], v[2:3], v[4:5]
	v_add_f64 v[14:15], v[10:11], v[14:15]
	;; [unrolled: 1-line block ×5, first 2 shown]
	v_and_b32_e32 v14, 56, v27
	v_lshl_add_u32 v14, v0, 3, v14
	ds_write_b64 v14, v[22:23]
	s_waitcnt lgkmcnt(0)
	s_barrier
	s_and_saveexec_b64 s[6:7], vcc
	s_cbranch_execz .LBB60_19
; %bb.18:
	v_and_b32_e32 v14, 0xf8, v0
	v_lshl_add_u32 v30, v0, 5, v14
	ds_read2_b64 v[14:17], v30 offset1:1
	ds_read2_b64 v[18:21], v30 offset0:2 offset1:3
	v_mbcnt_lo_u32_b32 v24, -1, 0
	v_mbcnt_hi_u32_b32 v31, -1, v24
	v_and_b32_e32 v32, 15, v31
	s_waitcnt lgkmcnt(1)
	v_add_f64 v[24:25], v[14:15], v[16:17]
	s_waitcnt lgkmcnt(0)
	v_add_f64 v[24:25], v[24:25], v[18:19]
	v_add_f64 v[24:25], v[24:25], v[20:21]
	v_cmp_eq_u32_e64 s[4:5], 0, v32
	s_nop 0
	v_mov_b32_dpp v28, v24 row_shr:1 row_mask:0xf bank_mask:0xf
	v_mov_b32_dpp v29, v25 row_shr:1 row_mask:0xf bank_mask:0xf
	v_add_f64 v[28:29], v[24:25], v[28:29]
	v_cndmask_b32_e64 v25, v29, v25, s[4:5]
	v_cndmask_b32_e64 v24, v28, v24, s[4:5]
	v_cmp_lt_u32_e64 s[4:5], 1, v32
	v_mov_b32_dpp v29, v25 row_shr:2 row_mask:0xf bank_mask:0xf
	v_mov_b32_dpp v28, v24 row_shr:2 row_mask:0xf bank_mask:0xf
	v_add_f64 v[28:29], v[24:25], v[28:29]
	v_cndmask_b32_e64 v24, v24, v28, s[4:5]
	v_cndmask_b32_e64 v25, v25, v29, s[4:5]
	v_cmp_lt_u32_e64 s[4:5], 3, v32
	v_mov_b32_dpp v28, v24 row_shr:4 row_mask:0xf bank_mask:0xf
	v_mov_b32_dpp v29, v25 row_shr:4 row_mask:0xf bank_mask:0xf
	v_add_f64 v[28:29], v[24:25], v[28:29]
	v_cndmask_b32_e64 v24, v24, v28, s[4:5]
	v_cndmask_b32_e64 v25, v25, v29, s[4:5]
	v_cmp_lt_u32_e64 s[4:5], 7, v32
	v_mov_b32_dpp v28, v24 row_shr:8 row_mask:0xf bank_mask:0xf
	v_mov_b32_dpp v29, v25 row_shr:8 row_mask:0xf bank_mask:0xf
	v_add_f64 v[28:29], v[24:25], v[28:29]
	v_cndmask_b32_e64 v24, v24, v28, s[4:5]
	v_cndmask_b32_e64 v25, v25, v29, s[4:5]
	v_and_b32_e32 v32, 16, v31
	v_mov_b32_dpp v28, v24 row_bcast:15 row_mask:0xf bank_mask:0xf
	v_mov_b32_dpp v29, v25 row_bcast:15 row_mask:0xf bank_mask:0xf
	v_add_f64 v[28:29], v[24:25], v[28:29]
	v_cmp_eq_u32_e64 s[4:5], 0, v32
	s_nop 1
	v_cndmask_b32_e64 v25, v29, v25, s[4:5]
	v_cndmask_b32_e64 v24, v28, v24, s[4:5]
	v_cmp_lt_u32_e64 s[4:5], 31, v31
	v_mov_b32_dpp v29, v25 row_bcast:31 row_mask:0xf bank_mask:0xf
	v_mov_b32_dpp v28, v24 row_bcast:31 row_mask:0xf bank_mask:0xf
	v_add_f64 v[28:29], v[24:25], v[28:29]
	v_cndmask_b32_e64 v25, v25, v29, s[4:5]
	v_cndmask_b32_e64 v24, v24, v28, s[4:5]
	v_add_u32_e32 v28, -1, v31
	v_and_b32_e32 v29, 64, v31
	v_cmp_lt_i32_e64 s[4:5], v28, v29
	s_nop 1
	v_cndmask_b32_e64 v28, v28, v31, s[4:5]
	v_lshlrev_b32_e32 v28, 2, v28
	ds_bpermute_b32 v24, v28, v24
	ds_bpermute_b32 v25, v28, v25
	v_cmp_eq_u32_e64 s[4:5], 0, v0
	s_waitcnt lgkmcnt(0)
	v_add_f64 v[14:15], v[14:15], v[24:25]
	v_cndmask_b32_e64 v15, v15, v23, s[4:5]
	v_cndmask_b32_e64 v14, v14, v22, s[4:5]
	v_add_f64 v[16:17], v[16:17], v[14:15]
	ds_write2_b64 v30, v[14:15], v[16:17] offset1:1
	v_add_f64 v[14:15], v[18:19], v[16:17]
	v_add_f64 v[16:17], v[20:21], v[14:15]
	ds_write2_b64 v30, v[14:15], v[16:17] offset0:2 offset1:3
.LBB60_19:
	s_or_b64 exec, exec, s[6:7]
	v_cmp_eq_u32_e64 s[6:7], 0, v0
	v_cmp_ne_u32_e64 s[4:5], 0, v0
	s_waitcnt lgkmcnt(0)
	s_barrier
	s_and_saveexec_b64 s[10:11], s[4:5]
; %bb.20:
	v_add_u32_e32 v14, -1, v0
	v_lshrrev_b32_e32 v15, 2, v14
	v_and_b32_e32 v15, 0x3ffffff8, v15
	v_lshl_add_u32 v14, v14, 3, v15
	ds_read_b64 v[22:23], v14
; %bb.21:
	s_or_b64 exec, exec, s[10:11]
	s_and_saveexec_b64 s[10:11], vcc
	s_cbranch_execz .LBB60_41
; %bb.22:
	v_mov_b32_e32 v17, 0
	ds_read_b64 v[14:15], v17 offset:2096
	v_mbcnt_lo_u32_b32 v16, -1, 0
	v_mbcnt_hi_u32_b32 v25, -1, v16
	s_mov_b32 s15, 0
	v_cmp_eq_u32_e64 s[4:5], 0, v25
	s_and_saveexec_b64 s[12:13], s[4:5]
	s_cbranch_execz .LBB60_24
; %bb.23:
	s_add_i32 s14, s2, 64
	s_lshl_b64 s[14:15], s[14:15], 4
	s_add_u32 s14, s8, s14
	s_addc_u32 s15, s9, s15
	v_mov_b32_e32 v16, 1
	v_mov_b64_e32 v[18:19], s[14:15]
	s_waitcnt lgkmcnt(0)
	;;#ASMSTART
	global_store_dwordx4 v[18:19], v[14:17] off sc1	
s_waitcnt vmcnt(0)
	;;#ASMEND
.LBB60_24:
	s_or_b64 exec, exec, s[12:13]
	v_xad_u32 v24, v25, -1, s2
	v_add_u32_e32 v16, 64, v24
	v_lshl_add_u64 v[28:29], v[16:17], 4, s[8:9]
	;;#ASMSTART
	global_load_dwordx4 v[18:21], v[28:29] off sc1	
s_waitcnt vmcnt(0)
	;;#ASMEND
	s_nop 0
	v_cmp_eq_u16_sdwa s[14:15], v20, v17 src0_sel:BYTE_0 src1_sel:DWORD
	s_and_saveexec_b64 s[12:13], s[14:15]
	s_cbranch_execz .LBB60_28
; %bb.25:
	s_mov_b64 s[14:15], 0
	v_mov_b32_e32 v16, 0
.LBB60_26:                              ; =>This Inner Loop Header: Depth=1
	;;#ASMSTART
	global_load_dwordx4 v[18:21], v[28:29] off sc1	
s_waitcnt vmcnt(0)
	;;#ASMEND
	s_nop 0
	v_cmp_ne_u16_sdwa s[16:17], v20, v16 src0_sel:BYTE_0 src1_sel:DWORD
	s_or_b64 s[14:15], s[16:17], s[14:15]
	s_andn2_b64 exec, exec, s[14:15]
	s_cbranch_execnz .LBB60_26
; %bb.27:
	s_or_b64 exec, exec, s[14:15]
.LBB60_28:
	s_or_b64 exec, exec, s[12:13]
	v_and_b32_e32 v31, 63, v25
	v_cmp_ne_u32_e32 vcc, 63, v31
	v_mov_b32_e32 v32, 2
	v_cmp_eq_u16_sdwa s[12:13], v20, v32 src0_sel:BYTE_0 src1_sel:DWORD
	v_addc_co_u32_e32 v28, vcc, 0, v25, vcc
	v_lshlrev_b64 v[16:17], v25, -1
	v_lshlrev_b32_e32 v33, 2, v28
	v_and_b32_e32 v21, s13, v17
	ds_bpermute_b32 v28, v33, v18
	ds_bpermute_b32 v29, v33, v19
	v_or_b32_e32 v21, 0x80000000, v21
	v_and_b32_e32 v30, s12, v16
	v_ffbl_b32_e32 v21, v21
	v_add_u32_e32 v21, 32, v21
	v_ffbl_b32_e32 v30, v30
	v_min_u32_e32 v21, v30, v21
	v_add_u32_e32 v34, 1, v25
	s_waitcnt lgkmcnt(0)
	v_add_f64 v[28:29], v[18:19], v[28:29]
	v_cmp_gt_u32_e32 vcc, v34, v21
	v_add_u32_e32 v36, 2, v25
	v_add_u32_e32 v38, 4, v25
	v_cndmask_b32_e32 v18, v28, v18, vcc
	v_cndmask_b32_e32 v19, v29, v19, vcc
	v_cmp_gt_u32_e32 vcc, 62, v31
	v_add_u32_e32 v40, 8, v25
	v_add_u32_e32 v42, 16, v25
	v_cndmask_b32_e64 v28, 0, 2, vcc
	v_add_lshl_u32 v35, v28, v25, 2
	ds_bpermute_b32 v28, v35, v18
	ds_bpermute_b32 v29, v35, v19
	v_cmp_gt_u32_e32 vcc, v36, v21
	v_add_u32_e32 v44, 32, v25
	s_waitcnt lgkmcnt(0)
	v_add_f64 v[28:29], v[18:19], v[28:29]
	v_cndmask_b32_e32 v18, v28, v18, vcc
	v_cndmask_b32_e32 v19, v29, v19, vcc
	v_cmp_gt_u32_e32 vcc, 60, v31
	s_nop 1
	v_cndmask_b32_e64 v28, 0, 4, vcc
	v_add_lshl_u32 v37, v28, v25, 2
	ds_bpermute_b32 v28, v37, v18
	ds_bpermute_b32 v29, v37, v19
	v_cmp_gt_u32_e32 vcc, v38, v21
	s_waitcnt lgkmcnt(0)
	v_add_f64 v[28:29], v[18:19], v[28:29]
	v_cndmask_b32_e32 v18, v28, v18, vcc
	v_cndmask_b32_e32 v19, v29, v19, vcc
	v_cmp_gt_u32_e32 vcc, 56, v31
	s_nop 1
	v_cndmask_b32_e64 v28, 0, 8, vcc
	v_add_lshl_u32 v39, v28, v25, 2
	ds_bpermute_b32 v28, v39, v18
	ds_bpermute_b32 v29, v39, v19
	v_cmp_gt_u32_e32 vcc, v40, v21
	;; [unrolled: 11-line block ×3, first 2 shown]
	s_waitcnt lgkmcnt(0)
	v_add_f64 v[28:29], v[18:19], v[28:29]
	v_cndmask_b32_e32 v18, v28, v18, vcc
	v_mov_b32_e32 v28, 0x80
	v_lshl_or_b32 v43, v25, 2, v28
	v_cndmask_b32_e32 v19, v29, v19, vcc
	ds_bpermute_b32 v28, v43, v18
	ds_bpermute_b32 v29, v43, v19
	v_cmp_gt_u32_e32 vcc, v44, v21
	v_mov_b32_e32 v25, 0
	s_waitcnt lgkmcnt(0)
	v_add_f64 v[28:29], v[18:19], v[28:29]
	v_cndmask_b32_e32 v19, v29, v19, vcc
	v_cndmask_b32_e32 v18, v28, v18, vcc
	s_branch .LBB60_32
.LBB60_29:                              ;   in Loop: Header=BB60_32 Depth=1
	s_or_b64 exec, exec, s[14:15]
.LBB60_30:                              ;   in Loop: Header=BB60_32 Depth=1
	s_or_b64 exec, exec, s[12:13]
	v_cmp_eq_u16_sdwa s[12:13], v20, v32 src0_sel:BYTE_0 src1_sel:DWORD
	ds_bpermute_b32 v30, v33, v18
	ds_bpermute_b32 v31, v33, v19
	v_and_b32_e32 v21, s13, v17
	v_or_b32_e32 v21, 0x80000000, v21
	v_and_b32_e32 v45, s12, v16
	v_ffbl_b32_e32 v21, v21
	v_add_u32_e32 v21, 32, v21
	v_ffbl_b32_e32 v45, v45
	v_min_u32_e32 v21, v45, v21
	s_waitcnt lgkmcnt(0)
	v_add_f64 v[30:31], v[18:19], v[30:31]
	v_cmp_gt_u32_e32 vcc, v34, v21
	v_subrev_u32_e32 v24, 64, v24
	s_mov_b64 s[12:13], 0
	v_cndmask_b32_e32 v18, v30, v18, vcc
	v_cndmask_b32_e32 v19, v31, v19, vcc
	ds_bpermute_b32 v30, v35, v18
	ds_bpermute_b32 v31, v35, v19
	v_cmp_gt_u32_e32 vcc, v36, v21
	s_waitcnt lgkmcnt(0)
	v_add_f64 v[30:31], v[18:19], v[30:31]
	v_cndmask_b32_e32 v18, v30, v18, vcc
	v_cndmask_b32_e32 v19, v31, v19, vcc
	ds_bpermute_b32 v30, v37, v18
	ds_bpermute_b32 v31, v37, v19
	v_cmp_gt_u32_e32 vcc, v38, v21
	s_waitcnt lgkmcnt(0)
	v_add_f64 v[30:31], v[18:19], v[30:31]
	;; [unrolled: 7-line block ×5, first 2 shown]
	v_cndmask_b32_e32 v19, v31, v19, vcc
	v_cndmask_b32_e32 v18, v30, v18, vcc
	v_add_f64 v[18:19], v[28:29], v[18:19]
.LBB60_31:                              ;   in Loop: Header=BB60_32 Depth=1
	s_and_b64 vcc, exec, s[12:13]
	s_cbranch_vccnz .LBB60_37
.LBB60_32:                              ; =>This Loop Header: Depth=1
                                        ;     Child Loop BB60_35 Depth 2
	v_cmp_ne_u16_sdwa s[12:13], v20, v32 src0_sel:BYTE_0 src1_sel:DWORD
	v_mov_b64_e32 v[28:29], v[18:19]
	s_cmp_lg_u64 s[12:13], exec
	s_mov_b64 s[12:13], -1
                                        ; implicit-def: $vgpr18_vgpr19
                                        ; implicit-def: $vgpr20
	s_cbranch_scc1 .LBB60_31
; %bb.33:                               ;   in Loop: Header=BB60_32 Depth=1
	v_lshl_add_u64 v[30:31], v[24:25], 4, s[8:9]
	;;#ASMSTART
	global_load_dwordx4 v[18:21], v[30:31] off sc1	
s_waitcnt vmcnt(0)
	;;#ASMEND
	s_nop 0
	v_cmp_eq_u16_sdwa s[14:15], v20, v25 src0_sel:BYTE_0 src1_sel:DWORD
	s_and_saveexec_b64 s[12:13], s[14:15]
	s_cbranch_execz .LBB60_30
; %bb.34:                               ;   in Loop: Header=BB60_32 Depth=1
	s_mov_b64 s[14:15], 0
.LBB60_35:                              ;   Parent Loop BB60_32 Depth=1
                                        ; =>  This Inner Loop Header: Depth=2
	;;#ASMSTART
	global_load_dwordx4 v[18:21], v[30:31] off sc1	
s_waitcnt vmcnt(0)
	;;#ASMEND
	s_nop 0
	v_cmp_ne_u16_sdwa s[16:17], v20, v25 src0_sel:BYTE_0 src1_sel:DWORD
	s_or_b64 s[14:15], s[16:17], s[14:15]
	s_andn2_b64 exec, exec, s[14:15]
	s_cbranch_execnz .LBB60_35
	s_branch .LBB60_29
.LBB60_36:
                                        ; implicit-def: $vgpr16_vgpr17
                                        ; implicit-def: $vgpr20_vgpr21
                                        ; implicit-def: $vgpr24_vgpr25
	s_load_dwordx4 s[4:7], s[0:1], 0x38
	s_cbranch_execnz .LBB60_42
	s_branch .LBB60_51
.LBB60_37:
	s_and_saveexec_b64 s[12:13], s[4:5]
	s_cbranch_execz .LBB60_39
; %bb.38:
	s_add_i32 s2, s2, 64
	s_mov_b32 s3, 0
	s_lshl_b64 s[2:3], s[2:3], 4
	s_add_u32 s2, s8, s2
	s_addc_u32 s3, s9, s3
	v_add_f64 v[14:15], v[14:15], v[28:29]
	v_mov_b32_e32 v16, 2
	v_mov_b32_e32 v17, 0
	v_mov_b64_e32 v[18:19], s[2:3]
	;;#ASMSTART
	global_store_dwordx4 v[18:19], v[14:17] off sc1	
s_waitcnt vmcnt(0)
	;;#ASMEND
.LBB60_39:
	s_or_b64 exec, exec, s[12:13]
	s_and_b64 exec, exec, s[6:7]
; %bb.40:
	v_mov_b32_e32 v14, 0
	ds_write_b64 v14, v[28:29]
.LBB60_41:
	s_or_b64 exec, exec, s[10:11]
	v_mov_b32_e32 v14, 0
	s_waitcnt lgkmcnt(0)
	s_barrier
	ds_read_b64 v[14:15], v14
	v_add_f64 v[16:17], v[2:3], v[22:23]
	v_cndmask_b32_e64 v17, v17, v3, s[6:7]
	v_cndmask_b32_e64 v16, v16, v2, s[6:7]
	s_waitcnt lgkmcnt(0)
	v_add_f64 v[22:23], v[16:17], v[14:15]
	v_add_f64 v[24:25], v[4:5], v[22:23]
	;; [unrolled: 1-line block ×6, first 2 shown]
	s_load_dwordx4 s[4:7], s[0:1], 0x38
	s_branch .LBB60_51
.LBB60_42:
	s_load_dword s10, s[0:1], 0x48
	v_cmp_eq_u32_e32 vcc, 0, v0
	v_cmp_ne_u32_e64 s[2:3], 0, v0
	s_waitcnt lgkmcnt(0)
	s_bitcmp1_b32 s10, 0
	s_cselect_b64 s[10:11], -1, 0
	s_and_b64 s[12:13], vcc, s[10:11]
	s_and_saveexec_b64 s[10:11], s[12:13]
	s_cbranch_execz .LBB60_44
; %bb.43:
	v_mov_b32_e32 v14, 0
	global_load_dwordx2 v[14:15], v14, s[4:5]
	s_waitcnt vmcnt(0)
	v_add_f64 v[2:3], v[2:3], v[14:15]
.LBB60_44:
	s_or_b64 exec, exec, s[10:11]
	v_add_f64 v[24:25], v[2:3], v[4:5]
	v_add_f64 v[18:19], v[10:11], v[24:25]
	;; [unrolled: 1-line block ×4, first 2 shown]
	v_and_b32_e32 v22, 56, v27
	v_add_f64 v[16:17], v[8:9], v[14:15]
	v_lshl_add_u32 v22, v0, 3, v22
	v_cmp_gt_u32_e64 s[4:5], 64, v0
	ds_write_b64 v22, v[16:17]
	s_waitcnt lgkmcnt(0)
	s_barrier
	s_and_saveexec_b64 s[10:11], s[4:5]
	s_cbranch_execz .LBB60_46
; %bb.45:
	v_and_b32_e32 v22, 0xf8, v0
	v_lshl_add_u32 v27, v0, 5, v22
	ds_read2_b64 v[28:31], v27 offset1:1
	ds_read2_b64 v[32:35], v27 offset0:2 offset1:3
	v_mbcnt_lo_u32_b32 v22, -1, 0
	v_mbcnt_hi_u32_b32 v38, -1, v22
	v_and_b32_e32 v39, 15, v38
	s_waitcnt lgkmcnt(1)
	v_add_f64 v[22:23], v[28:29], v[30:31]
	s_waitcnt lgkmcnt(0)
	v_add_f64 v[22:23], v[22:23], v[32:33]
	v_add_f64 v[22:23], v[22:23], v[34:35]
	v_cmp_eq_u32_e64 s[4:5], 0, v39
	s_nop 0
	v_mov_b32_dpp v36, v22 row_shr:1 row_mask:0xf bank_mask:0xf
	v_mov_b32_dpp v37, v23 row_shr:1 row_mask:0xf bank_mask:0xf
	v_add_f64 v[36:37], v[22:23], v[36:37]
	v_cndmask_b32_e64 v23, v37, v23, s[4:5]
	v_cndmask_b32_e64 v22, v36, v22, s[4:5]
	v_cmp_lt_u32_e64 s[4:5], 1, v39
	v_mov_b32_dpp v37, v23 row_shr:2 row_mask:0xf bank_mask:0xf
	v_mov_b32_dpp v36, v22 row_shr:2 row_mask:0xf bank_mask:0xf
	v_add_f64 v[36:37], v[22:23], v[36:37]
	v_cndmask_b32_e64 v22, v22, v36, s[4:5]
	v_cndmask_b32_e64 v23, v23, v37, s[4:5]
	v_cmp_lt_u32_e64 s[4:5], 3, v39
	;; [unrolled: 6-line block ×3, first 2 shown]
	v_mov_b32_dpp v36, v22 row_shr:8 row_mask:0xf bank_mask:0xf
	v_mov_b32_dpp v37, v23 row_shr:8 row_mask:0xf bank_mask:0xf
	v_add_f64 v[36:37], v[22:23], v[36:37]
	v_cndmask_b32_e64 v22, v22, v36, s[4:5]
	v_cndmask_b32_e64 v23, v23, v37, s[4:5]
	v_and_b32_e32 v39, 16, v38
	v_mov_b32_dpp v36, v22 row_bcast:15 row_mask:0xf bank_mask:0xf
	v_mov_b32_dpp v37, v23 row_bcast:15 row_mask:0xf bank_mask:0xf
	v_add_f64 v[36:37], v[22:23], v[36:37]
	v_cmp_eq_u32_e64 s[4:5], 0, v39
	s_nop 1
	v_cndmask_b32_e64 v23, v37, v23, s[4:5]
	v_cndmask_b32_e64 v22, v36, v22, s[4:5]
	v_cmp_lt_u32_e64 s[4:5], 31, v38
	v_mov_b32_dpp v37, v23 row_bcast:31 row_mask:0xf bank_mask:0xf
	v_mov_b32_dpp v36, v22 row_bcast:31 row_mask:0xf bank_mask:0xf
	v_add_f64 v[36:37], v[22:23], v[36:37]
	v_cndmask_b32_e64 v23, v23, v37, s[4:5]
	v_cndmask_b32_e64 v22, v22, v36, s[4:5]
	v_add_u32_e32 v36, -1, v38
	v_and_b32_e32 v37, 64, v38
	v_cmp_lt_i32_e64 s[4:5], v36, v37
	s_nop 1
	v_cndmask_b32_e64 v36, v36, v38, s[4:5]
	v_lshlrev_b32_e32 v36, 2, v36
	ds_bpermute_b32 v22, v36, v22
	ds_bpermute_b32 v23, v36, v23
	s_waitcnt lgkmcnt(0)
	v_add_f64 v[22:23], v[28:29], v[22:23]
	v_cndmask_b32_e32 v23, v23, v17, vcc
	v_cndmask_b32_e32 v22, v22, v16, vcc
	v_add_f64 v[28:29], v[30:31], v[22:23]
	ds_write2_b64 v27, v[22:23], v[28:29] offset1:1
	v_add_f64 v[22:23], v[32:33], v[28:29]
	v_add_f64 v[28:29], v[34:35], v[22:23]
	ds_write2_b64 v27, v[22:23], v[28:29] offset0:2 offset1:3
.LBB60_46:
	s_or_b64 exec, exec, s[10:11]
	s_waitcnt lgkmcnt(0)
	s_barrier
	s_and_saveexec_b64 s[4:5], s[2:3]
	s_cbranch_execz .LBB60_48
; %bb.47:
	v_add_u32_e32 v14, -1, v0
	v_lshrrev_b32_e32 v15, 2, v14
	v_and_b32_e32 v15, 0x3ffffff8, v15
	v_lshl_add_u32 v14, v14, 3, v15
	ds_read_b64 v[14:15], v14
	s_waitcnt lgkmcnt(0)
	v_add_f64 v[2:3], v[2:3], v[14:15]
	v_add_f64 v[24:25], v[4:5], v[2:3]
	;; [unrolled: 1-line block ×6, first 2 shown]
.LBB60_48:
	s_or_b64 exec, exec, s[4:5]
	s_and_saveexec_b64 s[2:3], vcc
	s_cbranch_execz .LBB60_50
; %bb.49:
	s_add_u32 s4, s8, 0x400
	v_mov_b32_e32 v7, 0
	s_addc_u32 s5, s9, 0
	ds_read_b64 v[4:5], v7 offset:2096
	v_mov_b32_e32 v6, 2
	v_mov_b64_e32 v[8:9], s[4:5]
	s_waitcnt lgkmcnt(0)
	;;#ASMSTART
	global_store_dwordx4 v[8:9], v[4:7] off sc1	
s_waitcnt vmcnt(0)
	;;#ASMEND
.LBB60_50:
	s_or_b64 exec, exec, s[2:3]
	v_mov_b64_e32 v[22:23], v[2:3]
.LBB60_51:
	s_add_u32 s2, s22, s26
	s_addc_u32 s3, s23, s27
	s_waitcnt lgkmcnt(0)
	s_mov_b64 s[4:5], -1
	s_and_b64 vcc, exec, s[24:25]
	s_barrier
	s_cbranch_vccz .LBB60_53
; %bb.52:
	s_movk_i32 s4, 0xffd8
	v_mad_i32_i24 v10, v0, s4, v1
	ds_write_b128 v1, v[22:25]
	ds_write_b128 v1, v[18:21] offset:16
	ds_write_b128 v1, v[14:17] offset:32
	s_waitcnt lgkmcnt(0)
	s_barrier
	ds_read2st64_b64 v[2:5], v10 offset1:4
	ds_read2st64_b64 v[6:9], v10 offset0:8 offset1:12
	ds_read2st64_b64 v[10:13], v10 offset0:16 offset1:20
	v_mov_b32_e32 v27, 0
	v_lshl_add_u64 v[28:29], s[2:3], 0, v[26:27]
	s_waitcnt lgkmcnt(2)
	global_store_dwordx2 v26, v[2:3], s[2:3]
	global_store_dwordx2 v26, v[4:5], s[2:3] offset:2048
	v_add_co_u32_e32 v2, vcc, 0x1000, v28
	s_mov_b64 s[4:5], 0
	s_nop 0
	v_addc_co_u32_e32 v3, vcc, 0, v29, vcc
	s_waitcnt lgkmcnt(1)
	global_store_dwordx2 v[2:3], v[6:7], off
	global_store_dwordx2 v[2:3], v[8:9], off offset:2048
	v_add_co_u32_e32 v2, vcc, 0x2000, v28
	s_nop 1
	v_addc_co_u32_e32 v3, vcc, 0, v29, vcc
	s_waitcnt lgkmcnt(0)
	global_store_dwordx2 v[2:3], v[10:11], off
	global_store_dwordx2 v[2:3], v[12:13], off offset:2048
.LBB60_53:
	s_andn2_b64 vcc, exec, s[4:5]
	s_cbranch_vccnz .LBB60_86
; %bb.54:
	s_movk_i32 s4, 0xffd8
	ds_write_b128 v1, v[22:25]
	ds_write_b128 v1, v[18:21] offset:16
	ds_write_b128 v1, v[14:17] offset:32
	v_mad_i32_i24 v1, v0, s4, v1
	s_waitcnt lgkmcnt(0)
	s_barrier
	ds_read2st64_b64 v[4:7], v1 offset1:4
	ds_read2st64_b64 v[8:11], v1 offset0:8 offset1:12
	ds_read2st64_b64 v[12:15], v1 offset0:16 offset1:20
	v_mov_b32_e32 v27, 0
	v_lshl_add_u64 v[2:3], s[2:3], 0, v[26:27]
	v_cmp_gt_u32_e32 vcc, s28, v0
	s_and_saveexec_b64 s[2:3], vcc
	s_cbranch_execz .LBB60_56
; %bb.55:
	s_waitcnt lgkmcnt(2)
	global_store_dwordx2 v[2:3], v[4:5], off
.LBB60_56:
	s_or_b64 exec, exec, s[2:3]
	v_or_b32_e32 v1, 0x100, v0
	v_cmp_gt_u32_e32 vcc, s28, v1
	s_and_saveexec_b64 s[2:3], vcc
	s_cbranch_execz .LBB60_58
; %bb.57:
	s_waitcnt lgkmcnt(2)
	global_store_dwordx2 v[2:3], v[6:7], off offset:2048
.LBB60_58:
	s_or_b64 exec, exec, s[2:3]
	v_or_b32_e32 v1, 0x200, v0
	v_cmp_gt_u32_e32 vcc, s28, v1
	s_and_saveexec_b64 s[2:3], vcc
	s_cbranch_execz .LBB60_60
; %bb.59:
	v_add_co_u32_e32 v16, vcc, 0x1000, v2
	s_nop 1
	v_addc_co_u32_e32 v17, vcc, 0, v3, vcc
	s_waitcnt lgkmcnt(1)
	global_store_dwordx2 v[16:17], v[8:9], off
.LBB60_60:
	s_or_b64 exec, exec, s[2:3]
	v_or_b32_e32 v1, 0x300, v0
	v_cmp_gt_u32_e32 vcc, s28, v1
	s_and_saveexec_b64 s[2:3], vcc
	s_cbranch_execz .LBB60_62
; %bb.61:
	v_add_co_u32_e32 v16, vcc, 0x1000, v2
	s_nop 1
	v_addc_co_u32_e32 v17, vcc, 0, v3, vcc
	s_waitcnt lgkmcnt(1)
	global_store_dwordx2 v[16:17], v[10:11], off offset:2048
.LBB60_62:
	s_or_b64 exec, exec, s[2:3]
	v_or_b32_e32 v1, 0x400, v0
	v_cmp_gt_u32_e32 vcc, s28, v1
	s_and_saveexec_b64 s[2:3], vcc
	s_cbranch_execz .LBB60_64
; %bb.63:
	v_add_co_u32_e32 v16, vcc, 0x2000, v2
	s_nop 1
	v_addc_co_u32_e32 v17, vcc, 0, v3, vcc
	s_waitcnt lgkmcnt(0)
	global_store_dwordx2 v[16:17], v[12:13], off
.LBB60_64:
	s_or_b64 exec, exec, s[2:3]
	v_or_b32_e32 v1, 0x500, v0
	v_cmp_gt_u32_e32 vcc, s28, v1
	s_and_saveexec_b64 s[2:3], vcc
	s_cbranch_execz .LBB60_66
; %bb.65:
	v_add_co_u32_e32 v2, vcc, 0x2000, v2
	s_nop 1
	v_addc_co_u32_e32 v3, vcc, 0, v3, vcc
	s_waitcnt lgkmcnt(0)
	global_store_dwordx2 v[2:3], v[14:15], off offset:2048
.LBB60_66:
	s_or_b64 exec, exec, s[2:3]
	s_load_dword s0, s[0:1], 0x48
	s_waitcnt lgkmcnt(0)
	s_bfe_u32 s0, s0, 0x10008
	s_cmp_eq_u32 s0, 0
	s_cbranch_scc1 .LBB60_86
; %bb.67:
	s_add_u32 s0, s28, -1
	s_addc_u32 s1, s29, -1
	s_mul_i32 s5, s1, 0xaaaaaaab
	s_mul_hi_u32 s8, s0, 0xaaaaaaab
	s_mul_hi_u32 s4, s1, 0xaaaaaaab
	s_add_u32 s5, s5, s8
	s_mul_i32 s3, s0, 0xaaaaaaaa
	s_addc_u32 s4, s4, 0
	s_mul_hi_u32 s2, s0, 0xaaaaaaaa
	s_add_u32 s3, s3, s5
	s_addc_u32 s2, s2, 0
	s_add_u32 s2, s4, s2
	s_addc_u32 s3, 0, 0
	s_mul_i32 s5, s1, 0xaaaaaaaa
	s_mul_hi_u32 s4, s1, 0xaaaaaaaa
	s_add_u32 s2, s5, s2
	s_addc_u32 s3, s4, s3
	v_mov_b32_e32 v1, v27
	s_lshr_b64 s[2:3], s[2:3], 2
	v_cmp_eq_u64_e32 vcc, s[2:3], v[0:1]
	s_and_saveexec_b64 s[2:3], vcc
	s_cbranch_execz .LBB60_86
; %bb.68:
	v_mul_hi_u32_u24_e32 v1, 6, v0
	v_mul_u32_u24_e32 v0, 6, v0
	v_mov_b32_e32 v2, s1
	v_sub_co_u32_e32 v0, vcc, s0, v0
	s_nop 1
	v_subb_co_u32_e32 v1, vcc, v2, v1, vcc
	v_cmp_lt_i64_e32 vcc, 2, v[0:1]
	s_and_saveexec_b64 s[0:1], vcc
	s_xor_b64 s[0:1], exec, s[0:1]
	s_cbranch_execz .LBB60_78
; %bb.69:
	v_cmp_lt_i64_e32 vcc, 3, v[0:1]
	s_and_saveexec_b64 s[2:3], vcc
	s_xor_b64 s[2:3], exec, s[2:3]
	s_cbranch_execz .LBB60_75
; %bb.70:
	;; [unrolled: 5-line block ×3, first 2 shown]
	v_mov_b32_e32 v0, 0
	global_store_dwordx2 v0, v[14:15], s[6:7]
                                        ; implicit-def: $vgpr12_vgpr13_vgpr14_vgpr15
.LBB60_72:
	s_andn2_saveexec_b64 s[4:5], s[4:5]
	s_cbranch_execz .LBB60_74
; %bb.73:
	v_mov_b32_e32 v0, 0
	global_store_dwordx2 v0, v[12:13], s[6:7]
.LBB60_74:
	s_or_b64 exec, exec, s[4:5]
                                        ; implicit-def: $vgpr8_vgpr9_vgpr10_vgpr11
.LBB60_75:
	s_andn2_saveexec_b64 s[2:3], s[2:3]
	s_cbranch_execz .LBB60_77
; %bb.76:
	v_mov_b32_e32 v0, 0
	global_store_dwordx2 v0, v[10:11], s[6:7]
.LBB60_77:
	s_or_b64 exec, exec, s[2:3]
                                        ; implicit-def: $vgpr0_vgpr1
                                        ; implicit-def: $vgpr8_vgpr9_vgpr10_vgpr11
                                        ; implicit-def: $vgpr4_vgpr5_vgpr6_vgpr7
.LBB60_78:
	s_andn2_saveexec_b64 s[0:1], s[0:1]
	s_cbranch_execz .LBB60_86
; %bb.79:
	v_cmp_lt_i64_e32 vcc, 1, v[0:1]
	s_and_saveexec_b64 s[0:1], vcc
	s_xor_b64 s[0:1], exec, s[0:1]
	s_cbranch_execz .LBB60_81
; %bb.80:
	v_mov_b32_e32 v0, 0
	global_store_dwordx2 v0, v[8:9], s[6:7]
                                        ; implicit-def: $vgpr4_vgpr5_vgpr6_vgpr7
                                        ; implicit-def: $vgpr0_vgpr1
.LBB60_81:
	s_andn2_saveexec_b64 s[0:1], s[0:1]
	s_cbranch_execz .LBB60_86
; %bb.82:
	v_cmp_ne_u64_e32 vcc, 1, v[0:1]
	s_and_saveexec_b64 s[0:1], vcc
	s_xor_b64 s[0:1], exec, s[0:1]
	s_cbranch_execz .LBB60_84
; %bb.83:
	v_mov_b32_e32 v0, 0
	global_store_dwordx2 v0, v[4:5], s[6:7]
                                        ; implicit-def: $vgpr4_vgpr5_vgpr6_vgpr7
.LBB60_84:
	s_andn2_saveexec_b64 s[0:1], s[0:1]
	s_cbranch_execz .LBB60_86
; %bb.85:
	v_mov_b32_e32 v0, 0
	global_store_dwordx2 v0, v[6:7], s[6:7]
.LBB60_86:
	s_endpgm
	.section	.rodata,"a",@progbits
	.p2align	6, 0x0
	.amdhsa_kernel _ZN7rocprim17ROCPRIM_304000_NS6detail20lookback_scan_kernelILNS1_25lookback_scan_determinismE0ELb0ENS1_19wrapped_scan_configINS0_14default_configEdEEPKdPdSt4plusIdEddNS1_19lookback_scan_stateIdLb0ELb1EEEEEvT2_T3_mT5_T4_T7_jPT6_SK_bb
		.amdhsa_group_segment_fixed_size 12288
		.amdhsa_private_segment_fixed_size 0
		.amdhsa_kernarg_size 76
		.amdhsa_user_sgpr_count 2
		.amdhsa_user_sgpr_dispatch_ptr 0
		.amdhsa_user_sgpr_queue_ptr 0
		.amdhsa_user_sgpr_kernarg_segment_ptr 1
		.amdhsa_user_sgpr_dispatch_id 0
		.amdhsa_user_sgpr_kernarg_preload_length 0
		.amdhsa_user_sgpr_kernarg_preload_offset 0
		.amdhsa_user_sgpr_private_segment_size 0
		.amdhsa_uses_dynamic_stack 0
		.amdhsa_enable_private_segment 0
		.amdhsa_system_sgpr_workgroup_id_x 1
		.amdhsa_system_sgpr_workgroup_id_y 0
		.amdhsa_system_sgpr_workgroup_id_z 0
		.amdhsa_system_sgpr_workgroup_info 0
		.amdhsa_system_vgpr_workitem_id 0
		.amdhsa_next_free_vgpr 46
		.amdhsa_next_free_sgpr 30
		.amdhsa_accum_offset 48
		.amdhsa_reserve_vcc 1
		.amdhsa_float_round_mode_32 0
		.amdhsa_float_round_mode_16_64 0
		.amdhsa_float_denorm_mode_32 3
		.amdhsa_float_denorm_mode_16_64 3
		.amdhsa_dx10_clamp 1
		.amdhsa_ieee_mode 1
		.amdhsa_fp16_overflow 0
		.amdhsa_tg_split 0
		.amdhsa_exception_fp_ieee_invalid_op 0
		.amdhsa_exception_fp_denorm_src 0
		.amdhsa_exception_fp_ieee_div_zero 0
		.amdhsa_exception_fp_ieee_overflow 0
		.amdhsa_exception_fp_ieee_underflow 0
		.amdhsa_exception_fp_ieee_inexact 0
		.amdhsa_exception_int_div_zero 0
	.end_amdhsa_kernel
	.section	.text._ZN7rocprim17ROCPRIM_304000_NS6detail20lookback_scan_kernelILNS1_25lookback_scan_determinismE0ELb0ENS1_19wrapped_scan_configINS0_14default_configEdEEPKdPdSt4plusIdEddNS1_19lookback_scan_stateIdLb0ELb1EEEEEvT2_T3_mT5_T4_T7_jPT6_SK_bb,"axG",@progbits,_ZN7rocprim17ROCPRIM_304000_NS6detail20lookback_scan_kernelILNS1_25lookback_scan_determinismE0ELb0ENS1_19wrapped_scan_configINS0_14default_configEdEEPKdPdSt4plusIdEddNS1_19lookback_scan_stateIdLb0ELb1EEEEEvT2_T3_mT5_T4_T7_jPT6_SK_bb,comdat
.Lfunc_end60:
	.size	_ZN7rocprim17ROCPRIM_304000_NS6detail20lookback_scan_kernelILNS1_25lookback_scan_determinismE0ELb0ENS1_19wrapped_scan_configINS0_14default_configEdEEPKdPdSt4plusIdEddNS1_19lookback_scan_stateIdLb0ELb1EEEEEvT2_T3_mT5_T4_T7_jPT6_SK_bb, .Lfunc_end60-_ZN7rocprim17ROCPRIM_304000_NS6detail20lookback_scan_kernelILNS1_25lookback_scan_determinismE0ELb0ENS1_19wrapped_scan_configINS0_14default_configEdEEPKdPdSt4plusIdEddNS1_19lookback_scan_stateIdLb0ELb1EEEEEvT2_T3_mT5_T4_T7_jPT6_SK_bb
                                        ; -- End function
	.set _ZN7rocprim17ROCPRIM_304000_NS6detail20lookback_scan_kernelILNS1_25lookback_scan_determinismE0ELb0ENS1_19wrapped_scan_configINS0_14default_configEdEEPKdPdSt4plusIdEddNS1_19lookback_scan_stateIdLb0ELb1EEEEEvT2_T3_mT5_T4_T7_jPT6_SK_bb.num_vgpr, 46
	.set _ZN7rocprim17ROCPRIM_304000_NS6detail20lookback_scan_kernelILNS1_25lookback_scan_determinismE0ELb0ENS1_19wrapped_scan_configINS0_14default_configEdEEPKdPdSt4plusIdEddNS1_19lookback_scan_stateIdLb0ELb1EEEEEvT2_T3_mT5_T4_T7_jPT6_SK_bb.num_agpr, 0
	.set _ZN7rocprim17ROCPRIM_304000_NS6detail20lookback_scan_kernelILNS1_25lookback_scan_determinismE0ELb0ENS1_19wrapped_scan_configINS0_14default_configEdEEPKdPdSt4plusIdEddNS1_19lookback_scan_stateIdLb0ELb1EEEEEvT2_T3_mT5_T4_T7_jPT6_SK_bb.numbered_sgpr, 30
	.set _ZN7rocprim17ROCPRIM_304000_NS6detail20lookback_scan_kernelILNS1_25lookback_scan_determinismE0ELb0ENS1_19wrapped_scan_configINS0_14default_configEdEEPKdPdSt4plusIdEddNS1_19lookback_scan_stateIdLb0ELb1EEEEEvT2_T3_mT5_T4_T7_jPT6_SK_bb.num_named_barrier, 0
	.set _ZN7rocprim17ROCPRIM_304000_NS6detail20lookback_scan_kernelILNS1_25lookback_scan_determinismE0ELb0ENS1_19wrapped_scan_configINS0_14default_configEdEEPKdPdSt4plusIdEddNS1_19lookback_scan_stateIdLb0ELb1EEEEEvT2_T3_mT5_T4_T7_jPT6_SK_bb.private_seg_size, 0
	.set _ZN7rocprim17ROCPRIM_304000_NS6detail20lookback_scan_kernelILNS1_25lookback_scan_determinismE0ELb0ENS1_19wrapped_scan_configINS0_14default_configEdEEPKdPdSt4plusIdEddNS1_19lookback_scan_stateIdLb0ELb1EEEEEvT2_T3_mT5_T4_T7_jPT6_SK_bb.uses_vcc, 1
	.set _ZN7rocprim17ROCPRIM_304000_NS6detail20lookback_scan_kernelILNS1_25lookback_scan_determinismE0ELb0ENS1_19wrapped_scan_configINS0_14default_configEdEEPKdPdSt4plusIdEddNS1_19lookback_scan_stateIdLb0ELb1EEEEEvT2_T3_mT5_T4_T7_jPT6_SK_bb.uses_flat_scratch, 0
	.set _ZN7rocprim17ROCPRIM_304000_NS6detail20lookback_scan_kernelILNS1_25lookback_scan_determinismE0ELb0ENS1_19wrapped_scan_configINS0_14default_configEdEEPKdPdSt4plusIdEddNS1_19lookback_scan_stateIdLb0ELb1EEEEEvT2_T3_mT5_T4_T7_jPT6_SK_bb.has_dyn_sized_stack, 0
	.set _ZN7rocprim17ROCPRIM_304000_NS6detail20lookback_scan_kernelILNS1_25lookback_scan_determinismE0ELb0ENS1_19wrapped_scan_configINS0_14default_configEdEEPKdPdSt4plusIdEddNS1_19lookback_scan_stateIdLb0ELb1EEEEEvT2_T3_mT5_T4_T7_jPT6_SK_bb.has_recursion, 0
	.set _ZN7rocprim17ROCPRIM_304000_NS6detail20lookback_scan_kernelILNS1_25lookback_scan_determinismE0ELb0ENS1_19wrapped_scan_configINS0_14default_configEdEEPKdPdSt4plusIdEddNS1_19lookback_scan_stateIdLb0ELb1EEEEEvT2_T3_mT5_T4_T7_jPT6_SK_bb.has_indirect_call, 0
	.section	.AMDGPU.csdata,"",@progbits
; Kernel info:
; codeLenInByte = 4552
; TotalNumSgprs: 36
; NumVgprs: 46
; NumAgprs: 0
; TotalNumVgprs: 46
; ScratchSize: 0
; MemoryBound: 1
; FloatMode: 240
; IeeeMode: 1
; LDSByteSize: 12288 bytes/workgroup (compile time only)
; SGPRBlocks: 4
; VGPRBlocks: 5
; NumSGPRsForWavesPerEU: 36
; NumVGPRsForWavesPerEU: 46
; AccumOffset: 48
; Occupancy: 8
; WaveLimiterHint : 1
; COMPUTE_PGM_RSRC2:SCRATCH_EN: 0
; COMPUTE_PGM_RSRC2:USER_SGPR: 2
; COMPUTE_PGM_RSRC2:TRAP_HANDLER: 0
; COMPUTE_PGM_RSRC2:TGID_X_EN: 1
; COMPUTE_PGM_RSRC2:TGID_Y_EN: 0
; COMPUTE_PGM_RSRC2:TGID_Z_EN: 0
; COMPUTE_PGM_RSRC2:TIDIG_COMP_CNT: 0
; COMPUTE_PGM_RSRC3_GFX90A:ACCUM_OFFSET: 11
; COMPUTE_PGM_RSRC3_GFX90A:TG_SPLIT: 0
	.section	.text._ZN7rocprim17ROCPRIM_304000_NS6detail16transform_kernelINS1_24wrapped_transform_configINS0_14default_configEdEEdPdS6_NS0_8identityIdEEEEvT1_mT2_T3_,"axG",@progbits,_ZN7rocprim17ROCPRIM_304000_NS6detail16transform_kernelINS1_24wrapped_transform_configINS0_14default_configEdEEdPdS6_NS0_8identityIdEEEEvT1_mT2_T3_,comdat
	.protected	_ZN7rocprim17ROCPRIM_304000_NS6detail16transform_kernelINS1_24wrapped_transform_configINS0_14default_configEdEEdPdS6_NS0_8identityIdEEEEvT1_mT2_T3_ ; -- Begin function _ZN7rocprim17ROCPRIM_304000_NS6detail16transform_kernelINS1_24wrapped_transform_configINS0_14default_configEdEEdPdS6_NS0_8identityIdEEEEvT1_mT2_T3_
	.globl	_ZN7rocprim17ROCPRIM_304000_NS6detail16transform_kernelINS1_24wrapped_transform_configINS0_14default_configEdEEdPdS6_NS0_8identityIdEEEEvT1_mT2_T3_
	.p2align	8
	.type	_ZN7rocprim17ROCPRIM_304000_NS6detail16transform_kernelINS1_24wrapped_transform_configINS0_14default_configEdEEdPdS6_NS0_8identityIdEEEEvT1_mT2_T3_,@function
_ZN7rocprim17ROCPRIM_304000_NS6detail16transform_kernelINS1_24wrapped_transform_configINS0_14default_configEdEEdPdS6_NS0_8identityIdEEEEvT1_mT2_T3_: ; @_ZN7rocprim17ROCPRIM_304000_NS6detail16transform_kernelINS1_24wrapped_transform_configINS0_14default_configEdEEdPdS6_NS0_8identityIdEEEEvT1_mT2_T3_
; %bb.0:
	s_load_dword s3, s[0:1], 0x20
	s_load_dwordx4 s[4:7], s[0:1], 0x0
	s_lshl_b32 s8, s2, 7
	s_waitcnt lgkmcnt(0)
	s_add_i32 s3, s3, -1
	s_cmp_lg_u32 s2, s3
	s_cselect_b64 s[2:3], -1, 0
	s_sub_i32 s6, s6, s8
	v_cmp_gt_u32_e32 vcc, s6, v0
	s_or_b64 s[2:3], vcc, s[2:3]
	s_and_saveexec_b64 s[6:7], s[2:3]
	s_cbranch_execz .LBB61_2
; %bb.1:
	s_load_dwordx2 s[0:1], s[0:1], 0x10
	s_mov_b32 s9, 0
	s_lshl_b64 s[2:3], s[8:9], 3
	v_lshlrev_b32_e32 v2, 3, v0
	s_waitcnt lgkmcnt(0)
	s_add_u32 s0, s0, s2
	s_addc_u32 s1, s1, s3
	s_add_u32 s2, s4, s2
	s_addc_u32 s3, s5, s3
	global_load_dwordx2 v[0:1], v2, s[2:3]
	s_waitcnt vmcnt(0)
	global_store_dwordx2 v2, v[0:1], s[0:1]
.LBB61_2:
	s_endpgm
	.section	.rodata,"a",@progbits
	.p2align	6, 0x0
	.amdhsa_kernel _ZN7rocprim17ROCPRIM_304000_NS6detail16transform_kernelINS1_24wrapped_transform_configINS0_14default_configEdEEdPdS6_NS0_8identityIdEEEEvT1_mT2_T3_
		.amdhsa_group_segment_fixed_size 0
		.amdhsa_private_segment_fixed_size 0
		.amdhsa_kernarg_size 288
		.amdhsa_user_sgpr_count 2
		.amdhsa_user_sgpr_dispatch_ptr 0
		.amdhsa_user_sgpr_queue_ptr 0
		.amdhsa_user_sgpr_kernarg_segment_ptr 1
		.amdhsa_user_sgpr_dispatch_id 0
		.amdhsa_user_sgpr_kernarg_preload_length 0
		.amdhsa_user_sgpr_kernarg_preload_offset 0
		.amdhsa_user_sgpr_private_segment_size 0
		.amdhsa_uses_dynamic_stack 0
		.amdhsa_enable_private_segment 0
		.amdhsa_system_sgpr_workgroup_id_x 1
		.amdhsa_system_sgpr_workgroup_id_y 0
		.amdhsa_system_sgpr_workgroup_id_z 0
		.amdhsa_system_sgpr_workgroup_info 0
		.amdhsa_system_vgpr_workitem_id 0
		.amdhsa_next_free_vgpr 3
		.amdhsa_next_free_sgpr 10
		.amdhsa_accum_offset 4
		.amdhsa_reserve_vcc 1
		.amdhsa_float_round_mode_32 0
		.amdhsa_float_round_mode_16_64 0
		.amdhsa_float_denorm_mode_32 3
		.amdhsa_float_denorm_mode_16_64 3
		.amdhsa_dx10_clamp 1
		.amdhsa_ieee_mode 1
		.amdhsa_fp16_overflow 0
		.amdhsa_tg_split 0
		.amdhsa_exception_fp_ieee_invalid_op 0
		.amdhsa_exception_fp_denorm_src 0
		.amdhsa_exception_fp_ieee_div_zero 0
		.amdhsa_exception_fp_ieee_overflow 0
		.amdhsa_exception_fp_ieee_underflow 0
		.amdhsa_exception_fp_ieee_inexact 0
		.amdhsa_exception_int_div_zero 0
	.end_amdhsa_kernel
	.section	.text._ZN7rocprim17ROCPRIM_304000_NS6detail16transform_kernelINS1_24wrapped_transform_configINS0_14default_configEdEEdPdS6_NS0_8identityIdEEEEvT1_mT2_T3_,"axG",@progbits,_ZN7rocprim17ROCPRIM_304000_NS6detail16transform_kernelINS1_24wrapped_transform_configINS0_14default_configEdEEdPdS6_NS0_8identityIdEEEEvT1_mT2_T3_,comdat
.Lfunc_end61:
	.size	_ZN7rocprim17ROCPRIM_304000_NS6detail16transform_kernelINS1_24wrapped_transform_configINS0_14default_configEdEEdPdS6_NS0_8identityIdEEEEvT1_mT2_T3_, .Lfunc_end61-_ZN7rocprim17ROCPRIM_304000_NS6detail16transform_kernelINS1_24wrapped_transform_configINS0_14default_configEdEEdPdS6_NS0_8identityIdEEEEvT1_mT2_T3_
                                        ; -- End function
	.set _ZN7rocprim17ROCPRIM_304000_NS6detail16transform_kernelINS1_24wrapped_transform_configINS0_14default_configEdEEdPdS6_NS0_8identityIdEEEEvT1_mT2_T3_.num_vgpr, 3
	.set _ZN7rocprim17ROCPRIM_304000_NS6detail16transform_kernelINS1_24wrapped_transform_configINS0_14default_configEdEEdPdS6_NS0_8identityIdEEEEvT1_mT2_T3_.num_agpr, 0
	.set _ZN7rocprim17ROCPRIM_304000_NS6detail16transform_kernelINS1_24wrapped_transform_configINS0_14default_configEdEEdPdS6_NS0_8identityIdEEEEvT1_mT2_T3_.numbered_sgpr, 10
	.set _ZN7rocprim17ROCPRIM_304000_NS6detail16transform_kernelINS1_24wrapped_transform_configINS0_14default_configEdEEdPdS6_NS0_8identityIdEEEEvT1_mT2_T3_.num_named_barrier, 0
	.set _ZN7rocprim17ROCPRIM_304000_NS6detail16transform_kernelINS1_24wrapped_transform_configINS0_14default_configEdEEdPdS6_NS0_8identityIdEEEEvT1_mT2_T3_.private_seg_size, 0
	.set _ZN7rocprim17ROCPRIM_304000_NS6detail16transform_kernelINS1_24wrapped_transform_configINS0_14default_configEdEEdPdS6_NS0_8identityIdEEEEvT1_mT2_T3_.uses_vcc, 1
	.set _ZN7rocprim17ROCPRIM_304000_NS6detail16transform_kernelINS1_24wrapped_transform_configINS0_14default_configEdEEdPdS6_NS0_8identityIdEEEEvT1_mT2_T3_.uses_flat_scratch, 0
	.set _ZN7rocprim17ROCPRIM_304000_NS6detail16transform_kernelINS1_24wrapped_transform_configINS0_14default_configEdEEdPdS6_NS0_8identityIdEEEEvT1_mT2_T3_.has_dyn_sized_stack, 0
	.set _ZN7rocprim17ROCPRIM_304000_NS6detail16transform_kernelINS1_24wrapped_transform_configINS0_14default_configEdEEdPdS6_NS0_8identityIdEEEEvT1_mT2_T3_.has_recursion, 0
	.set _ZN7rocprim17ROCPRIM_304000_NS6detail16transform_kernelINS1_24wrapped_transform_configINS0_14default_configEdEEdPdS6_NS0_8identityIdEEEEvT1_mT2_T3_.has_indirect_call, 0
	.section	.AMDGPU.csdata,"",@progbits
; Kernel info:
; codeLenInByte = 120
; TotalNumSgprs: 16
; NumVgprs: 3
; NumAgprs: 0
; TotalNumVgprs: 3
; ScratchSize: 0
; MemoryBound: 0
; FloatMode: 240
; IeeeMode: 1
; LDSByteSize: 0 bytes/workgroup (compile time only)
; SGPRBlocks: 1
; VGPRBlocks: 0
; NumSGPRsForWavesPerEU: 16
; NumVGPRsForWavesPerEU: 3
; AccumOffset: 4
; Occupancy: 8
; WaveLimiterHint : 0
; COMPUTE_PGM_RSRC2:SCRATCH_EN: 0
; COMPUTE_PGM_RSRC2:USER_SGPR: 2
; COMPUTE_PGM_RSRC2:TRAP_HANDLER: 0
; COMPUTE_PGM_RSRC2:TGID_X_EN: 1
; COMPUTE_PGM_RSRC2:TGID_Y_EN: 0
; COMPUTE_PGM_RSRC2:TGID_Z_EN: 0
; COMPUTE_PGM_RSRC2:TIDIG_COMP_CNT: 0
; COMPUTE_PGM_RSRC3_GFX90A:ACCUM_OFFSET: 0
; COMPUTE_PGM_RSRC3_GFX90A:TG_SPLIT: 0
	.section	.text._ZN7rocprim17ROCPRIM_304000_NS6detail18single_scan_kernelILb0ENS1_19wrapped_scan_configINS0_14default_configEdEEPKdPdSt4plusIdEddEEvT1_mT4_T2_T3_,"axG",@progbits,_ZN7rocprim17ROCPRIM_304000_NS6detail18single_scan_kernelILb0ENS1_19wrapped_scan_configINS0_14default_configEdEEPKdPdSt4plusIdEddEEvT1_mT4_T2_T3_,comdat
	.protected	_ZN7rocprim17ROCPRIM_304000_NS6detail18single_scan_kernelILb0ENS1_19wrapped_scan_configINS0_14default_configEdEEPKdPdSt4plusIdEddEEvT1_mT4_T2_T3_ ; -- Begin function _ZN7rocprim17ROCPRIM_304000_NS6detail18single_scan_kernelILb0ENS1_19wrapped_scan_configINS0_14default_configEdEEPKdPdSt4plusIdEddEEvT1_mT4_T2_T3_
	.globl	_ZN7rocprim17ROCPRIM_304000_NS6detail18single_scan_kernelILb0ENS1_19wrapped_scan_configINS0_14default_configEdEEPKdPdSt4plusIdEddEEvT1_mT4_T2_T3_
	.p2align	8
	.type	_ZN7rocprim17ROCPRIM_304000_NS6detail18single_scan_kernelILb0ENS1_19wrapped_scan_configINS0_14default_configEdEEPKdPdSt4plusIdEddEEvT1_mT4_T2_T3_,@function
_ZN7rocprim17ROCPRIM_304000_NS6detail18single_scan_kernelILb0ENS1_19wrapped_scan_configINS0_14default_configEdEEPKdPdSt4plusIdEddEEvT1_mT4_T2_T3_: ; @_ZN7rocprim17ROCPRIM_304000_NS6detail18single_scan_kernelILb0ENS1_19wrapped_scan_configINS0_14default_configEdEEPKdPdSt4plusIdEddEEvT1_mT4_T2_T3_
; %bb.0:
	s_load_dwordx4 s[16:19], s[0:1], 0x0
	v_mov_b32_e32 v23, 0
	v_lshlrev_b32_e32 v22, 3, v0
	s_waitcnt lgkmcnt(0)
	s_load_dwordx2 s[4:5], s[16:17], 0x0
	v_lshl_add_u64 v[18:19], s[16:17], 0, v[22:23]
	v_cmp_gt_u32_e64 s[2:3], s18, v0
	s_waitcnt lgkmcnt(0)
	s_mov_b32 s6, s4
	s_mov_b32 s7, s5
	;; [unrolled: 1-line block ×10, first 2 shown]
	v_mov_b64_e32 v[2:3], s[4:5]
	v_mov_b64_e32 v[4:5], s[6:7]
	;; [unrolled: 1-line block ×8, first 2 shown]
	s_and_saveexec_b64 s[6:7], s[2:3]
	s_cbranch_execz .LBB62_2
; %bb.1:
	global_load_dwordx2 v[2:3], v[18:19], off
	v_mov_b32_e32 v4, s4
	v_mov_b32_e32 v5, s5
	;; [unrolled: 1-line block ×10, first 2 shown]
.LBB62_2:
	s_or_b64 exec, exec, s[6:7]
	v_or_b32_e32 v1, 0x100, v0
	v_cmp_gt_u32_e64 s[4:5], s18, v1
	s_and_saveexec_b64 s[6:7], s[4:5]
	s_cbranch_execz .LBB62_4
; %bb.3:
	global_load_dwordx2 v[4:5], v[18:19], off offset:2048
.LBB62_4:
	s_or_b64 exec, exec, s[6:7]
	v_or_b32_e32 v1, 0x200, v0
	v_cmp_gt_u32_e64 s[6:7], s18, v1
	s_and_saveexec_b64 s[8:9], s[6:7]
	s_cbranch_execz .LBB62_6
; %bb.5:
	v_add_co_u32_e32 v6, vcc, 0x1000, v18
	s_nop 1
	v_addc_co_u32_e32 v7, vcc, 0, v19, vcc
	global_load_dwordx2 v[6:7], v[6:7], off
.LBB62_6:
	s_or_b64 exec, exec, s[8:9]
	v_or_b32_e32 v1, 0x300, v0
	v_cmp_gt_u32_e64 s[8:9], s18, v1
	s_and_saveexec_b64 s[10:11], s[8:9]
	s_cbranch_execz .LBB62_8
; %bb.7:
	v_add_co_u32_e32 v8, vcc, 0x1000, v18
	s_nop 1
	v_addc_co_u32_e32 v9, vcc, 0, v19, vcc
	global_load_dwordx2 v[8:9], v[8:9], off offset:2048
.LBB62_8:
	s_or_b64 exec, exec, s[10:11]
	v_or_b32_e32 v1, 0x400, v0
	v_cmp_gt_u32_e64 s[10:11], s18, v1
	s_and_saveexec_b64 s[12:13], s[10:11]
	s_cbranch_execz .LBB62_10
; %bb.9:
	v_add_co_u32_e32 v10, vcc, 0x2000, v18
	s_nop 1
	v_addc_co_u32_e32 v11, vcc, 0, v19, vcc
	global_load_dwordx2 v[10:11], v[10:11], off
.LBB62_10:
	s_or_b64 exec, exec, s[12:13]
	v_or_b32_e32 v1, 0x500, v0
	v_cmp_gt_u32_e64 s[12:13], s18, v1
	s_and_saveexec_b64 s[14:15], s[12:13]
	s_cbranch_execz .LBB62_12
; %bb.11:
	v_add_co_u32_e32 v12, vcc, 0x2000, v18
	s_nop 1
	v_addc_co_u32_e32 v13, vcc, 0, v19, vcc
	global_load_dwordx2 v[12:13], v[12:13], off offset:2048
.LBB62_12:
	s_or_b64 exec, exec, s[14:15]
	v_mad_u32_u24 v1, v0, 40, v22
	s_waitcnt vmcnt(0)
	ds_write2st64_b64 v22, v[2:3], v[4:5] offset1:4
	ds_write2st64_b64 v22, v[6:7], v[8:9] offset0:8 offset1:12
	ds_write2st64_b64 v22, v[10:11], v[12:13] offset0:16 offset1:20
	s_waitcnt lgkmcnt(0)
	s_barrier
	ds_read_b128 v[2:5], v1
	ds_read_b128 v[18:21], v1 offset:16
	ds_read_b128 v[14:17], v1 offset:32
	v_lshrrev_b32_e32 v1, 2, v0
	v_and_b32_e32 v1, 56, v1
	s_waitcnt lgkmcnt(2)
	v_add_f64 v[24:25], v[2:3], v[4:5]
	s_waitcnt lgkmcnt(1)
	v_add_f64 v[10:11], v[24:25], v[18:19]
	v_add_f64 v[12:13], v[10:11], v[20:21]
	s_waitcnt lgkmcnt(0)
	v_add_f64 v[6:7], v[12:13], v[14:15]
	v_add_f64 v[8:9], v[6:7], v[16:17]
	v_add_u32_e32 v1, v22, v1
	v_cmp_gt_u32_e32 vcc, 64, v0
	s_barrier
	ds_write_b64 v1, v[8:9]
	s_waitcnt lgkmcnt(0)
	s_barrier
	s_and_saveexec_b64 s[14:15], vcc
	s_cbranch_execz .LBB62_14
; %bb.13:
	v_and_b32_e32 v1, 0xf8, v0
	v_lshl_add_u32 v1, v0, 5, v1
	ds_read2_b64 v[26:29], v1 offset1:1
	ds_read2_b64 v[30:33], v1 offset0:2 offset1:3
	v_mbcnt_lo_u32_b32 v23, -1, 0
	v_mbcnt_hi_u32_b32 v23, -1, v23
	v_and_b32_e32 v38, 15, v23
	s_waitcnt lgkmcnt(1)
	v_add_f64 v[34:35], v[26:27], v[28:29]
	s_waitcnt lgkmcnt(0)
	v_add_f64 v[34:35], v[34:35], v[30:31]
	v_add_f64 v[34:35], v[34:35], v[32:33]
	v_cmp_eq_u32_e32 vcc, 0, v38
	s_nop 0
	v_mov_b32_dpp v36, v34 row_shr:1 row_mask:0xf bank_mask:0xf
	v_mov_b32_dpp v37, v35 row_shr:1 row_mask:0xf bank_mask:0xf
	v_add_f64 v[36:37], v[34:35], v[36:37]
	v_cndmask_b32_e32 v35, v37, v35, vcc
	v_cndmask_b32_e32 v34, v36, v34, vcc
	v_cmp_lt_u32_e32 vcc, 1, v38
	v_mov_b32_dpp v37, v35 row_shr:2 row_mask:0xf bank_mask:0xf
	v_mov_b32_dpp v36, v34 row_shr:2 row_mask:0xf bank_mask:0xf
	v_add_f64 v[36:37], v[34:35], v[36:37]
	v_cndmask_b32_e32 v34, v34, v36, vcc
	v_cndmask_b32_e32 v35, v35, v37, vcc
	v_cmp_lt_u32_e32 vcc, 3, v38
	;; [unrolled: 6-line block ×3, first 2 shown]
	v_mov_b32_dpp v36, v34 row_shr:8 row_mask:0xf bank_mask:0xf
	v_mov_b32_dpp v37, v35 row_shr:8 row_mask:0xf bank_mask:0xf
	v_add_f64 v[36:37], v[34:35], v[36:37]
	v_cndmask_b32_e32 v34, v34, v36, vcc
	v_cndmask_b32_e32 v35, v35, v37, vcc
	v_and_b32_e32 v38, 16, v23
	v_mov_b32_dpp v36, v34 row_bcast:15 row_mask:0xf bank_mask:0xf
	v_mov_b32_dpp v37, v35 row_bcast:15 row_mask:0xf bank_mask:0xf
	v_add_f64 v[36:37], v[34:35], v[36:37]
	v_cmp_eq_u32_e32 vcc, 0, v38
	s_nop 1
	v_cndmask_b32_e32 v35, v37, v35, vcc
	v_cndmask_b32_e32 v34, v36, v34, vcc
	v_cmp_lt_u32_e32 vcc, 31, v23
	v_mov_b32_dpp v37, v35 row_bcast:31 row_mask:0xf bank_mask:0xf
	v_mov_b32_dpp v36, v34 row_bcast:31 row_mask:0xf bank_mask:0xf
	v_add_f64 v[36:37], v[34:35], v[36:37]
	v_cndmask_b32_e32 v35, v35, v37, vcc
	v_cndmask_b32_e32 v34, v34, v36, vcc
	v_add_u32_e32 v36, -1, v23
	v_and_b32_e32 v37, 64, v23
	v_cmp_lt_i32_e32 vcc, v36, v37
	s_nop 1
	v_cndmask_b32_e32 v23, v36, v23, vcc
	v_lshlrev_b32_e32 v23, 2, v23
	ds_bpermute_b32 v34, v23, v34
	ds_bpermute_b32 v35, v23, v35
	v_cmp_eq_u32_e32 vcc, 0, v0
	s_waitcnt lgkmcnt(0)
	v_add_f64 v[26:27], v[26:27], v[34:35]
	v_cndmask_b32_e32 v27, v27, v9, vcc
	v_cndmask_b32_e32 v26, v26, v8, vcc
	v_add_f64 v[28:29], v[28:29], v[26:27]
	ds_write2_b64 v1, v[26:27], v[28:29] offset1:1
	v_add_f64 v[26:27], v[30:31], v[28:29]
	v_add_f64 v[28:29], v[32:33], v[26:27]
	ds_write2_b64 v1, v[26:27], v[28:29] offset0:2 offset1:3
.LBB62_14:
	s_or_b64 exec, exec, s[14:15]
	v_mul_u32_u24_e32 v1, 40, v0
	v_cmp_ne_u32_e32 vcc, 0, v0
	s_waitcnt lgkmcnt(0)
	s_barrier
	s_and_saveexec_b64 s[14:15], vcc
	s_cbranch_execz .LBB62_16
; %bb.15:
	v_add_u32_e32 v0, -1, v0
	v_lshrrev_b32_e32 v6, 2, v0
	v_and_b32_e32 v6, 0x3ffffff8, v6
	v_lshl_add_u32 v0, v0, 3, v6
	ds_read_b64 v[6:7], v0
	s_waitcnt lgkmcnt(0)
	v_add_f64 v[2:3], v[2:3], v[6:7]
	v_add_f64 v[24:25], v[4:5], v[2:3]
	;; [unrolled: 1-line block ×6, first 2 shown]
.LBB62_16:
	s_or_b64 exec, exec, s[14:15]
	v_add_u32_e32 v0, v22, v1
	v_mov_b32_e32 v4, v24
	v_mov_b32_e32 v5, v25
	s_load_dwordx2 s[0:1], s[0:1], 0x18
	s_waitcnt lgkmcnt(0)
	s_barrier
	ds_write_b128 v0, v[2:5]
	ds_write_b128 v0, v[10:13] offset:16
	ds_write_b128 v0, v[6:9] offset:32
	s_waitcnt lgkmcnt(0)
	s_barrier
	ds_read2st64_b64 v[4:7], v22 offset0:4 offset1:8
	ds_read2st64_b64 v[0:3], v22 offset0:12 offset1:16
	ds_read_b64 v[8:9], v22 offset:10240
	v_mov_b32_e32 v23, 0
	v_lshl_add_u64 v[10:11], s[0:1], 0, v[22:23]
	s_and_saveexec_b64 s[0:1], s[2:3]
	s_cbranch_execnz .LBB62_23
; %bb.17:
	s_or_b64 exec, exec, s[0:1]
	s_and_saveexec_b64 s[0:1], s[4:5]
	s_cbranch_execnz .LBB62_24
.LBB62_18:
	s_or_b64 exec, exec, s[0:1]
	s_and_saveexec_b64 s[0:1], s[6:7]
	s_cbranch_execnz .LBB62_25
.LBB62_19:
	s_or_b64 exec, exec, s[0:1]
	s_and_saveexec_b64 s[0:1], s[8:9]
	s_cbranch_execnz .LBB62_26
.LBB62_20:
	s_or_b64 exec, exec, s[0:1]
	s_and_saveexec_b64 s[0:1], s[10:11]
	s_cbranch_execnz .LBB62_27
.LBB62_21:
	s_or_b64 exec, exec, s[0:1]
	s_and_saveexec_b64 s[0:1], s[12:13]
	s_cbranch_execnz .LBB62_28
.LBB62_22:
	s_endpgm
.LBB62_23:
	ds_read_b64 v[12:13], v22
	s_waitcnt lgkmcnt(0)
	global_store_dwordx2 v[10:11], v[12:13], off
	s_or_b64 exec, exec, s[0:1]
	s_and_saveexec_b64 s[0:1], s[4:5]
	s_cbranch_execz .LBB62_18
.LBB62_24:
	s_waitcnt lgkmcnt(2)
	global_store_dwordx2 v[10:11], v[4:5], off offset:2048
	s_or_b64 exec, exec, s[0:1]
	s_and_saveexec_b64 s[0:1], s[6:7]
	s_cbranch_execz .LBB62_19
.LBB62_25:
	s_waitcnt lgkmcnt(2)
	v_add_co_u32_e32 v4, vcc, 0x1000, v10
	s_nop 1
	v_addc_co_u32_e32 v5, vcc, 0, v11, vcc
	global_store_dwordx2 v[4:5], v[6:7], off
	s_or_b64 exec, exec, s[0:1]
	s_and_saveexec_b64 s[0:1], s[8:9]
	s_cbranch_execz .LBB62_20
.LBB62_26:
	s_waitcnt lgkmcnt(2)
	v_add_co_u32_e32 v4, vcc, 0x1000, v10
	s_nop 1
	v_addc_co_u32_e32 v5, vcc, 0, v11, vcc
	s_waitcnt lgkmcnt(1)
	global_store_dwordx2 v[4:5], v[0:1], off offset:2048
	s_or_b64 exec, exec, s[0:1]
	s_and_saveexec_b64 s[0:1], s[10:11]
	s_cbranch_execz .LBB62_21
.LBB62_27:
	s_waitcnt lgkmcnt(1)
	v_add_co_u32_e32 v0, vcc, 0x2000, v10
	s_nop 1
	v_addc_co_u32_e32 v1, vcc, 0, v11, vcc
	global_store_dwordx2 v[0:1], v[2:3], off
	s_or_b64 exec, exec, s[0:1]
	s_and_saveexec_b64 s[0:1], s[12:13]
	s_cbranch_execz .LBB62_22
.LBB62_28:
	s_waitcnt lgkmcnt(1)
	v_add_co_u32_e32 v0, vcc, 0x2000, v10
	s_nop 1
	v_addc_co_u32_e32 v1, vcc, 0, v11, vcc
	s_waitcnt lgkmcnt(0)
	global_store_dwordx2 v[0:1], v[8:9], off offset:2048
	s_endpgm
	.section	.rodata,"a",@progbits
	.p2align	6, 0x0
	.amdhsa_kernel _ZN7rocprim17ROCPRIM_304000_NS6detail18single_scan_kernelILb0ENS1_19wrapped_scan_configINS0_14default_configEdEEPKdPdSt4plusIdEddEEvT1_mT4_T2_T3_
		.amdhsa_group_segment_fixed_size 12288
		.amdhsa_private_segment_fixed_size 0
		.amdhsa_kernarg_size 36
		.amdhsa_user_sgpr_count 2
		.amdhsa_user_sgpr_dispatch_ptr 0
		.amdhsa_user_sgpr_queue_ptr 0
		.amdhsa_user_sgpr_kernarg_segment_ptr 1
		.amdhsa_user_sgpr_dispatch_id 0
		.amdhsa_user_sgpr_kernarg_preload_length 0
		.amdhsa_user_sgpr_kernarg_preload_offset 0
		.amdhsa_user_sgpr_private_segment_size 0
		.amdhsa_uses_dynamic_stack 0
		.amdhsa_enable_private_segment 0
		.amdhsa_system_sgpr_workgroup_id_x 1
		.amdhsa_system_sgpr_workgroup_id_y 0
		.amdhsa_system_sgpr_workgroup_id_z 0
		.amdhsa_system_sgpr_workgroup_info 0
		.amdhsa_system_vgpr_workitem_id 0
		.amdhsa_next_free_vgpr 39
		.amdhsa_next_free_sgpr 20
		.amdhsa_accum_offset 40
		.amdhsa_reserve_vcc 1
		.amdhsa_float_round_mode_32 0
		.amdhsa_float_round_mode_16_64 0
		.amdhsa_float_denorm_mode_32 3
		.amdhsa_float_denorm_mode_16_64 3
		.amdhsa_dx10_clamp 1
		.amdhsa_ieee_mode 1
		.amdhsa_fp16_overflow 0
		.amdhsa_tg_split 0
		.amdhsa_exception_fp_ieee_invalid_op 0
		.amdhsa_exception_fp_denorm_src 0
		.amdhsa_exception_fp_ieee_div_zero 0
		.amdhsa_exception_fp_ieee_overflow 0
		.amdhsa_exception_fp_ieee_underflow 0
		.amdhsa_exception_fp_ieee_inexact 0
		.amdhsa_exception_int_div_zero 0
	.end_amdhsa_kernel
	.section	.text._ZN7rocprim17ROCPRIM_304000_NS6detail18single_scan_kernelILb0ENS1_19wrapped_scan_configINS0_14default_configEdEEPKdPdSt4plusIdEddEEvT1_mT4_T2_T3_,"axG",@progbits,_ZN7rocprim17ROCPRIM_304000_NS6detail18single_scan_kernelILb0ENS1_19wrapped_scan_configINS0_14default_configEdEEPKdPdSt4plusIdEddEEvT1_mT4_T2_T3_,comdat
.Lfunc_end62:
	.size	_ZN7rocprim17ROCPRIM_304000_NS6detail18single_scan_kernelILb0ENS1_19wrapped_scan_configINS0_14default_configEdEEPKdPdSt4plusIdEddEEvT1_mT4_T2_T3_, .Lfunc_end62-_ZN7rocprim17ROCPRIM_304000_NS6detail18single_scan_kernelILb0ENS1_19wrapped_scan_configINS0_14default_configEdEEPKdPdSt4plusIdEddEEvT1_mT4_T2_T3_
                                        ; -- End function
	.set _ZN7rocprim17ROCPRIM_304000_NS6detail18single_scan_kernelILb0ENS1_19wrapped_scan_configINS0_14default_configEdEEPKdPdSt4plusIdEddEEvT1_mT4_T2_T3_.num_vgpr, 39
	.set _ZN7rocprim17ROCPRIM_304000_NS6detail18single_scan_kernelILb0ENS1_19wrapped_scan_configINS0_14default_configEdEEPKdPdSt4plusIdEddEEvT1_mT4_T2_T3_.num_agpr, 0
	.set _ZN7rocprim17ROCPRIM_304000_NS6detail18single_scan_kernelILb0ENS1_19wrapped_scan_configINS0_14default_configEdEEPKdPdSt4plusIdEddEEvT1_mT4_T2_T3_.numbered_sgpr, 20
	.set _ZN7rocprim17ROCPRIM_304000_NS6detail18single_scan_kernelILb0ENS1_19wrapped_scan_configINS0_14default_configEdEEPKdPdSt4plusIdEddEEvT1_mT4_T2_T3_.num_named_barrier, 0
	.set _ZN7rocprim17ROCPRIM_304000_NS6detail18single_scan_kernelILb0ENS1_19wrapped_scan_configINS0_14default_configEdEEPKdPdSt4plusIdEddEEvT1_mT4_T2_T3_.private_seg_size, 0
	.set _ZN7rocprim17ROCPRIM_304000_NS6detail18single_scan_kernelILb0ENS1_19wrapped_scan_configINS0_14default_configEdEEPKdPdSt4plusIdEddEEvT1_mT4_T2_T3_.uses_vcc, 1
	.set _ZN7rocprim17ROCPRIM_304000_NS6detail18single_scan_kernelILb0ENS1_19wrapped_scan_configINS0_14default_configEdEEPKdPdSt4plusIdEddEEvT1_mT4_T2_T3_.uses_flat_scratch, 0
	.set _ZN7rocprim17ROCPRIM_304000_NS6detail18single_scan_kernelILb0ENS1_19wrapped_scan_configINS0_14default_configEdEEPKdPdSt4plusIdEddEEvT1_mT4_T2_T3_.has_dyn_sized_stack, 0
	.set _ZN7rocprim17ROCPRIM_304000_NS6detail18single_scan_kernelILb0ENS1_19wrapped_scan_configINS0_14default_configEdEEPKdPdSt4plusIdEddEEvT1_mT4_T2_T3_.has_recursion, 0
	.set _ZN7rocprim17ROCPRIM_304000_NS6detail18single_scan_kernelILb0ENS1_19wrapped_scan_configINS0_14default_configEdEEPKdPdSt4plusIdEddEEvT1_mT4_T2_T3_.has_indirect_call, 0
	.section	.AMDGPU.csdata,"",@progbits
; Kernel info:
; codeLenInByte = 1504
; TotalNumSgprs: 26
; NumVgprs: 39
; NumAgprs: 0
; TotalNumVgprs: 39
; ScratchSize: 0
; MemoryBound: 1
; FloatMode: 240
; IeeeMode: 1
; LDSByteSize: 12288 bytes/workgroup (compile time only)
; SGPRBlocks: 3
; VGPRBlocks: 4
; NumSGPRsForWavesPerEU: 26
; NumVGPRsForWavesPerEU: 39
; AccumOffset: 40
; Occupancy: 8
; WaveLimiterHint : 0
; COMPUTE_PGM_RSRC2:SCRATCH_EN: 0
; COMPUTE_PGM_RSRC2:USER_SGPR: 2
; COMPUTE_PGM_RSRC2:TRAP_HANDLER: 0
; COMPUTE_PGM_RSRC2:TGID_X_EN: 1
; COMPUTE_PGM_RSRC2:TGID_Y_EN: 0
; COMPUTE_PGM_RSRC2:TGID_Z_EN: 0
; COMPUTE_PGM_RSRC2:TIDIG_COMP_CNT: 0
; COMPUTE_PGM_RSRC3_GFX90A:ACCUM_OFFSET: 9
; COMPUTE_PGM_RSRC3_GFX90A:TG_SPLIT: 0
	.section	.text._ZN2at6native32tensor_kernel_scan_innermost_dimIdSt4plusIdEEEvPT_PKS4_jjjS4_T0_,"axG",@progbits,_ZN2at6native32tensor_kernel_scan_innermost_dimIdSt4plusIdEEEvPT_PKS4_jjjS4_T0_,comdat
	.protected	_ZN2at6native32tensor_kernel_scan_innermost_dimIdSt4plusIdEEEvPT_PKS4_jjjS4_T0_ ; -- Begin function _ZN2at6native32tensor_kernel_scan_innermost_dimIdSt4plusIdEEEvPT_PKS4_jjjS4_T0_
	.globl	_ZN2at6native32tensor_kernel_scan_innermost_dimIdSt4plusIdEEEvPT_PKS4_jjjS4_T0_
	.p2align	8
	.type	_ZN2at6native32tensor_kernel_scan_innermost_dimIdSt4plusIdEEEvPT_PKS4_jjjS4_T0_,@function
_ZN2at6native32tensor_kernel_scan_innermost_dimIdSt4plusIdEEEvPT_PKS4_jjjS4_T0_: ; @_ZN2at6native32tensor_kernel_scan_innermost_dimIdSt4plusIdEEEvPT_PKS4_jjjS4_T0_
; %bb.0:
	s_load_dwordx8 s[12:19], s[0:1], 0x0
	s_load_dwordx2 s[20:21], s[0:1], 0x20
	v_bfe_u32 v2, v0, 10, 10
	s_waitcnt lgkmcnt(0)
	s_lshl_b32 s3, 2, s18
	v_mul_lo_u32 v1, s3, v2
	s_mul_hi_u32 s4, s16, s17
	v_lshl_add_u32 v18, v1, 3, 0
	s_cmp_lg_u32 s4, 0
	s_mov_b64 s[4:5], -1
	s_cbranch_scc1 .LBB63_26
; %bb.1:
	s_load_dword s6, s[0:1], 0x3c
	s_add_u32 s4, s0, 48
	s_addc_u32 s5, s1, 0
	s_waitcnt lgkmcnt(0)
	s_lshr_b32 s6, s6, 16
	s_mul_i32 s19, s2, s6
	s_cmp_ge_u32 s19, s16
	s_cbranch_scc1 .LBB63_25
; %bb.2:
	s_load_dword s27, s[4:5], 0x0
	s_lshl_b32 s26, 1, s18
	s_cmp_lg_u32 s17, 0
	s_cselect_b64 s[10:11], -1, 0
	v_and_b32_e32 v1, 0x3ff, v0
	v_lshl_add_u32 v3, v1, 3, v18
	s_lshl_b32 s4, s3, 3
	v_cndmask_b32_e64 v4, 0, 1, s[10:11]
	v_lshl_add_u32 v16, s26, 3, v3
	v_cmp_eq_u32_e64 s[8:9], 0, v1
	v_add3_u32 v17, v18, s4, -8
	s_waitcnt lgkmcnt(0)
	s_mul_i32 s27, s27, s6
	s_add_i32 s28, s18, 1
	v_cmp_ne_u32_e64 s[4:5], 1, v4
	v_mov_b32_e32 v5, 0
	s_branch .LBB63_4
.LBB63_3:                               ;   in Loop: Header=BB63_4 Depth=1
	s_add_i32 s19, s19, s27
	s_cmp_ge_u32 s19, s16
	s_cbranch_scc1 .LBB63_25
.LBB63_4:                               ; =>This Loop Header: Depth=1
                                        ;     Child Loop BB63_7 Depth 2
                                        ;       Child Loop BB63_16 Depth 3
	s_and_b64 vcc, exec, s[4:5]
	s_cbranch_vccnz .LBB63_3
; %bb.5:                                ;   in Loop: Header=BB63_4 Depth=1
	v_add_u32_e32 v10, s19, v2
	v_mul_lo_u32 v4, v10, s17
	v_lshlrev_b64 v[8:9], 3, v[4:5]
	v_lshl_add_u64 v[6:7], s[14:15], 0, v[8:9]
	v_lshl_add_u64 v[8:9], s[12:13], 0, v[8:9]
	v_cmp_gt_u32_e32 vcc, s16, v10
	v_cmp_le_u32_e64 s[6:7], s16, v10
	s_mov_b32 s29, 0
	v_mov_b64_e32 v[12:13], s[20:21]
	s_branch .LBB63_7
.LBB63_6:                               ;   in Loop: Header=BB63_7 Depth=2
	s_or_b64 exec, exec, s[22:23]
	ds_read_b64 v[12:13], v17
	s_add_i32 s29, s29, s3
	s_cmp_ge_u32 s29, s17
	s_waitcnt lgkmcnt(0)
	s_barrier
	s_cbranch_scc1 .LBB63_3
.LBB63_7:                               ;   Parent Loop BB63_4 Depth=1
                                        ; =>  This Loop Header: Depth=2
                                        ;       Child Loop BB63_16 Depth 3
	v_add_u32_e32 v4, s29, v1
	v_add_u32_e32 v10, s26, v4
	s_and_saveexec_b64 s[22:23], vcc
	s_cbranch_execz .LBB63_14
; %bb.8:                                ;   in Loop: Header=BB63_7 Depth=2
	v_cmp_gt_u32_e64 s[10:11], s17, v4
	v_mov_b64_e32 v[14:15], s[20:21]
	s_and_saveexec_b64 s[24:25], s[10:11]
	s_cbranch_execz .LBB63_10
; %bb.9:                                ;   in Loop: Header=BB63_7 Depth=2
	v_lshl_add_u64 v[14:15], v[4:5], 3, v[6:7]
	global_load_dwordx2 v[14:15], v[14:15], off
.LBB63_10:                              ;   in Loop: Header=BB63_7 Depth=2
	s_or_b64 exec, exec, s[24:25]
	s_waitcnt vmcnt(0)
	ds_write_b64 v3, v[14:15]
	v_cmp_gt_u32_e64 s[10:11], s17, v10
	v_mov_b64_e32 v[14:15], s[20:21]
	s_and_saveexec_b64 s[24:25], s[10:11]
	s_cbranch_execz .LBB63_12
; %bb.11:                               ;   in Loop: Header=BB63_7 Depth=2
	v_mov_b32_e32 v11, v5
	v_lshl_add_u64 v[14:15], v[10:11], 3, v[6:7]
	global_load_dwordx2 v[14:15], v[14:15], off
.LBB63_12:                              ;   in Loop: Header=BB63_7 Depth=2
	s_or_b64 exec, exec, s[24:25]
	s_waitcnt vmcnt(0)
	ds_write_b64 v16, v[14:15]
	s_and_b64 exec, exec, s[8:9]
	s_cbranch_execz .LBB63_14
; %bb.13:                               ;   in Loop: Header=BB63_7 Depth=2
	ds_read_b64 v[14:15], v18
	s_waitcnt lgkmcnt(0)
	v_add_f64 v[12:13], v[12:13], v[14:15]
	ds_write_b64 v18, v[12:13]
.LBB63_14:                              ;   in Loop: Header=BB63_7 Depth=2
	s_or_b64 exec, exec, s[22:23]
	v_mov_b32_e32 v11, 0
	s_mov_b64 s[22:23], 0
	s_waitcnt lgkmcnt(0)
	s_barrier
	s_branch .LBB63_16
.LBB63_15:                              ;   in Loop: Header=BB63_16 Depth=3
	s_or_b64 exec, exec, s[10:11]
	v_cmp_eq_u32_e64 s[10:11], s28, v11
	s_or_b64 s[22:23], s[10:11], s[22:23]
	s_waitcnt lgkmcnt(0)
	s_barrier
	s_andn2_b64 exec, exec, s[22:23]
	s_cbranch_execz .LBB63_20
.LBB63_16:                              ;   Parent Loop BB63_4 Depth=1
                                        ;     Parent Loop BB63_7 Depth=2
                                        ; =>    This Inner Loop Header: Depth=3
	v_add_u32_e32 v12, 1, v11
	s_and_saveexec_b64 s[10:11], s[6:7]
	s_xor_b64 s[10:11], exec, s[10:11]
; %bb.17:                               ;   in Loop: Header=BB63_16 Depth=3
	v_add_u32_e32 v11, 1, v11
                                        ; implicit-def: $vgpr12
; %bb.18:                               ;   in Loop: Header=BB63_16 Depth=3
	s_andn2_saveexec_b64 s[10:11], s[10:11]
	s_cbranch_execz .LBB63_15
; %bb.19:                               ;   in Loop: Header=BB63_16 Depth=3
	v_lshlrev_b32_e64 v13, v11, 1
	v_lshrrev_b32_e32 v14, v11, v1
	v_lshl_or_b32 v13, v14, v12, v13
	v_bfm_b32 v11, v11, 0
	v_and_b32_e32 v11, v11, v1
	v_lshl_add_u32 v13, v13, 3, v18
	v_lshl_add_u32 v11, v11, 3, v13
	v_add_u32_e32 v13, -8, v13
	ds_read_b64 v[14:15], v11
	ds_read_b64 v[20:21], v13
	s_waitcnt lgkmcnt(0)
	v_add_f64 v[14:15], v[14:15], v[20:21]
	ds_write_b64 v11, v[14:15]
	v_mov_b32_e32 v11, v12
	s_branch .LBB63_15
.LBB63_20:                              ;   in Loop: Header=BB63_7 Depth=2
	s_or_b64 exec, exec, s[22:23]
	s_and_saveexec_b64 s[22:23], vcc
	s_cbranch_execz .LBB63_6
; %bb.21:                               ;   in Loop: Header=BB63_7 Depth=2
	v_cmp_gt_u32_e64 s[10:11], s17, v4
	s_and_saveexec_b64 s[24:25], s[10:11]
	s_cbranch_execz .LBB63_23
; %bb.22:                               ;   in Loop: Header=BB63_7 Depth=2
	ds_read_b64 v[12:13], v3
	v_lshl_add_u64 v[14:15], v[4:5], 3, v[8:9]
	s_waitcnt lgkmcnt(0)
	global_store_dwordx2 v[14:15], v[12:13], off
.LBB63_23:                              ;   in Loop: Header=BB63_7 Depth=2
	s_or_b64 exec, exec, s[24:25]
	v_cmp_gt_u32_e64 s[10:11], s17, v10
	s_and_b64 exec, exec, s[10:11]
	s_cbranch_execz .LBB63_6
; %bb.24:                               ;   in Loop: Header=BB63_7 Depth=2
	ds_read_b64 v[12:13], v16
	v_mov_b32_e32 v11, v5
	v_lshl_add_u64 v[10:11], v[10:11], 3, v[8:9]
	s_waitcnt lgkmcnt(0)
	global_store_dwordx2 v[10:11], v[12:13], off
	s_branch .LBB63_6
.LBB63_25:
	s_mov_b64 s[4:5], 0
.LBB63_26:
	s_andn2_b64 vcc, exec, s[4:5]
	s_cbranch_vccnz .LBB63_53
; %bb.27:
	s_load_dword s3, s[0:1], 0x3c
	s_add_u32 s0, s0, 48
	s_mov_b32 s9, 0
	s_addc_u32 s1, s1, 0
	s_mov_b32 s8, s16
	s_waitcnt lgkmcnt(0)
	s_lshr_b32 s3, s3, 16
	s_mul_hi_u32 s11, s3, s2
	s_mul_i32 s10, s3, s2
	v_mov_b64_e32 v[4:5], s[8:9]
	v_cmp_ge_u64_e32 vcc, s[10:11], v[4:5]
	s_cbranch_vccnz .LBB63_53
; %bb.28:
	s_lshl_b32 s22, 1, s18
	s_load_dword s5, s[0:1], 0x0
	s_and_b32 s4, 0xffff, s3
	s_ashr_i32 s23, s22, 31
	s_cmp_lg_u32 s17, 0
	s_mov_b32 s24, s17
	s_cselect_b64 s[2:3], -1, 0
	v_and_b32_e32 v0, 0x3ff, v0
	s_lshl_b64 s[16:17], s[22:23], 1
	v_mov_b32_e32 v3, 0
	v_lshl_add_u32 v19, v0, 3, v18
	s_lshl_b32 s6, s16, 3
	v_cndmask_b32_e64 v4, 0, 1, s[2:3]
	s_mov_b32 s25, s9
	v_mov_b32_e32 v1, v3
	v_lshl_add_u32 v20, s22, 3, v19
	v_cmp_eq_u32_e64 s[0:1], 0, v0
	v_add3_u32 v21, v18, s6, -8
	s_waitcnt lgkmcnt(0)
	s_mul_i32 s33, s5, s4
	s_add_i32 s34, s18, 1
	v_cmp_ne_u32_e64 s[2:3], 1, v4
	v_mov_b64_e32 v[4:5], s[8:9]
	s_branch .LBB63_30
.LBB63_29:                              ;   in Loop: Header=BB63_30 Depth=1
	s_add_u32 s10, s10, s33
	s_addc_u32 s11, s11, 0
	v_cmp_ge_u64_e32 vcc, s[10:11], v[4:5]
	s_cbranch_vccnz .LBB63_53
.LBB63_30:                              ; =>This Loop Header: Depth=1
                                        ;     Child Loop BB63_33 Depth 2
                                        ;       Child Loop BB63_43 Depth 3
	s_and_b64 vcc, exec, s[2:3]
	s_cbranch_vccnz .LBB63_29
; %bb.31:                               ;   in Loop: Header=BB63_30 Depth=1
	v_lshl_add_u64 v[10:11], s[10:11], 0, v[2:3]
	v_mad_u64_u32 v[6:7], s[4:5], v10, s24, 0
	v_mov_b32_e32 v8, v7
	v_mad_u64_u32 v[8:9], s[4:5], v11, s24, v[8:9]
	v_mov_b32_e32 v7, v8
	v_lshlrev_b64 v[8:9], 3, v[6:7]
	v_lshl_add_u64 v[6:7], s[14:15], 0, v[8:9]
	v_lshl_add_u64 v[8:9], s[12:13], 0, v[8:9]
	v_cmp_gt_u64_e64 s[4:5], s[8:9], v[10:11]
	v_cmp_le_u64_e64 s[6:7], s[8:9], v[10:11]
	s_mov_b64 s[18:19], 0
	v_mov_b64_e32 v[14:15], s[20:21]
	s_branch .LBB63_33
.LBB63_32:                              ;   in Loop: Header=BB63_33 Depth=2
	s_or_b64 exec, exec, s[26:27]
	ds_read_b64 v[14:15], v21
	s_add_u32 s18, s18, s16
	s_addc_u32 s19, s19, s17
	v_mov_b64_e32 v[10:11], s[24:25]
	v_cmp_ge_u64_e32 vcc, s[18:19], v[10:11]
	s_waitcnt lgkmcnt(0)
	s_barrier
	s_cbranch_vccnz .LBB63_29
.LBB63_33:                              ;   Parent Loop BB63_30 Depth=1
                                        ; =>  This Loop Header: Depth=2
                                        ;       Child Loop BB63_43 Depth 3
	v_lshl_add_u64 v[12:13], s[18:19], 0, v[0:1]
	v_lshl_add_u64 v[10:11], v[12:13], 0, s[22:23]
	s_and_saveexec_b64 s[26:27], s[4:5]
	s_cbranch_execz .LBB63_40
; %bb.34:                               ;   in Loop: Header=BB63_33 Depth=2
	v_cmp_gt_u64_e32 vcc, s[24:25], v[12:13]
	v_mov_b64_e32 v[16:17], s[20:21]
	s_and_saveexec_b64 s[28:29], vcc
	s_cbranch_execz .LBB63_36
; %bb.35:                               ;   in Loop: Header=BB63_33 Depth=2
	v_lshl_add_u64 v[16:17], v[12:13], 3, v[6:7]
	global_load_dwordx2 v[16:17], v[16:17], off
.LBB63_36:                              ;   in Loop: Header=BB63_33 Depth=2
	s_or_b64 exec, exec, s[28:29]
	s_waitcnt vmcnt(0)
	ds_write_b64 v19, v[16:17]
	v_cmp_gt_u64_e32 vcc, s[24:25], v[10:11]
	v_mov_b64_e32 v[16:17], s[20:21]
	s_and_saveexec_b64 s[28:29], vcc
	s_cbranch_execz .LBB63_38
; %bb.37:                               ;   in Loop: Header=BB63_33 Depth=2
	v_lshl_add_u64 v[16:17], v[10:11], 3, v[6:7]
	global_load_dwordx2 v[16:17], v[16:17], off
.LBB63_38:                              ;   in Loop: Header=BB63_33 Depth=2
	s_or_b64 exec, exec, s[28:29]
	s_waitcnt vmcnt(0)
	ds_write_b64 v20, v[16:17]
	s_and_b64 exec, exec, s[0:1]
	s_cbranch_execz .LBB63_40
; %bb.39:                               ;   in Loop: Header=BB63_33 Depth=2
	ds_read_b64 v[16:17], v18
	s_waitcnt lgkmcnt(0)
	v_add_f64 v[14:15], v[14:15], v[16:17]
	ds_write_b64 v18, v[14:15]
.LBB63_40:                              ;   in Loop: Header=BB63_33 Depth=2
	s_or_b64 exec, exec, s[26:27]
	v_mov_b32_e32 v23, 0
	s_mov_b64 s[26:27], 0
	s_waitcnt lgkmcnt(0)
	s_barrier
	s_branch .LBB63_43
.LBB63_41:                              ;   in Loop: Header=BB63_43 Depth=3
	s_or_b64 exec, exec, s[30:31]
	v_lshrrev_b32_e32 v15, v23, v0
	v_lshl_or_b32 v14, v15, v22, v14
	v_lshl_add_u32 v14, v14, 3, v18
	v_lshl_add_u32 v23, v16, 3, v14
	v_add_u32_e32 v16, -8, v14
	ds_read_b64 v[14:15], v23
	ds_read_b64 v[16:17], v16
	s_waitcnt lgkmcnt(0)
	v_add_f64 v[14:15], v[14:15], v[16:17]
	ds_write_b64 v23, v[14:15]
.LBB63_42:                              ;   in Loop: Header=BB63_43 Depth=3
	s_or_b64 exec, exec, s[28:29]
	v_cmp_eq_u32_e32 vcc, s34, v22
	s_or_b64 s[26:27], vcc, s[26:27]
	v_mov_b32_e32 v23, v22
	s_waitcnt lgkmcnt(0)
	s_barrier
	s_andn2_b64 exec, exec, s[26:27]
	s_cbranch_execz .LBB63_48
.LBB63_43:                              ;   Parent Loop BB63_30 Depth=1
                                        ;     Parent Loop BB63_33 Depth=2
                                        ; =>    This Inner Loop Header: Depth=3
	v_add_u32_e32 v22, 1, v23
	s_and_saveexec_b64 s[28:29], s[6:7]
	s_xor_b64 s[28:29], exec, s[28:29]
; %bb.44:                               ;   in Loop: Header=BB63_43 Depth=3
	v_add_u32_e32 v22, 1, v23
                                        ; implicit-def: $vgpr23
; %bb.45:                               ;   in Loop: Header=BB63_43 Depth=3
	s_andn2_saveexec_b64 s[28:29], s[28:29]
	s_cbranch_execz .LBB63_42
; %bb.46:                               ;   in Loop: Header=BB63_43 Depth=3
	v_lshlrev_b32_e64 v14, v23, 1
	v_ashrrev_i32_e32 v15, 31, v14
	v_cmp_ge_u64_e32 vcc, v[0:1], v[14:15]
	v_mov_b64_e32 v[16:17], v[0:1]
	s_and_saveexec_b64 s[30:31], vcc
	s_cbranch_execz .LBB63_41
; %bb.47:                               ;   in Loop: Header=BB63_43 Depth=3
	v_cvt_f32_u32_e32 v15, v14
	v_sub_u32_e32 v16, 0, v14
	v_rcp_iflag_f32_e32 v15, v15
	s_nop 0
	v_mul_f32_e32 v15, 0x4f7ffffe, v15
	v_cvt_u32_f32_e32 v15, v15
	v_mul_lo_u32 v16, v16, v15
	v_mul_hi_u32 v16, v15, v16
	v_add_u32_e32 v15, v15, v16
	v_mul_hi_u32 v15, v0, v15
	v_mul_lo_u32 v15, v15, v14
	v_sub_u32_e32 v15, v0, v15
	v_sub_u32_e32 v16, v15, v14
	v_cmp_ge_u32_e32 vcc, v15, v14
	s_nop 1
	v_cndmask_b32_e32 v15, v15, v16, vcc
	v_sub_u32_e32 v16, v15, v14
	v_cmp_ge_u32_e32 vcc, v15, v14
	s_nop 1
	v_cndmask_b32_e32 v16, v15, v16, vcc
	s_branch .LBB63_41
.LBB63_48:                              ;   in Loop: Header=BB63_33 Depth=2
	s_or_b64 exec, exec, s[26:27]
	s_and_saveexec_b64 s[26:27], s[4:5]
	s_cbranch_execz .LBB63_32
; %bb.49:                               ;   in Loop: Header=BB63_33 Depth=2
	v_cmp_gt_u64_e32 vcc, s[24:25], v[12:13]
	s_and_saveexec_b64 s[28:29], vcc
	s_cbranch_execz .LBB63_51
; %bb.50:                               ;   in Loop: Header=BB63_33 Depth=2
	ds_read_b64 v[14:15], v19
	v_lshl_add_u64 v[12:13], v[12:13], 3, v[8:9]
	s_waitcnt lgkmcnt(0)
	global_store_dwordx2 v[12:13], v[14:15], off
.LBB63_51:                              ;   in Loop: Header=BB63_33 Depth=2
	s_or_b64 exec, exec, s[28:29]
	v_cmp_gt_u64_e32 vcc, s[24:25], v[10:11]
	s_and_b64 exec, exec, vcc
	s_cbranch_execz .LBB63_32
; %bb.52:                               ;   in Loop: Header=BB63_33 Depth=2
	ds_read_b64 v[12:13], v20
	v_lshl_add_u64 v[10:11], v[10:11], 3, v[8:9]
	s_waitcnt lgkmcnt(0)
	global_store_dwordx2 v[10:11], v[12:13], off
	s_branch .LBB63_32
.LBB63_53:
	s_endpgm
	.section	.rodata,"a",@progbits
	.p2align	6, 0x0
	.amdhsa_kernel _ZN2at6native32tensor_kernel_scan_innermost_dimIdSt4plusIdEEEvPT_PKS4_jjjS4_T0_
		.amdhsa_group_segment_fixed_size 0
		.amdhsa_private_segment_fixed_size 0
		.amdhsa_kernarg_size 304
		.amdhsa_user_sgpr_count 2
		.amdhsa_user_sgpr_dispatch_ptr 0
		.amdhsa_user_sgpr_queue_ptr 0
		.amdhsa_user_sgpr_kernarg_segment_ptr 1
		.amdhsa_user_sgpr_dispatch_id 0
		.amdhsa_user_sgpr_kernarg_preload_length 0
		.amdhsa_user_sgpr_kernarg_preload_offset 0
		.amdhsa_user_sgpr_private_segment_size 0
		.amdhsa_uses_dynamic_stack 0
		.amdhsa_enable_private_segment 0
		.amdhsa_system_sgpr_workgroup_id_x 1
		.amdhsa_system_sgpr_workgroup_id_y 0
		.amdhsa_system_sgpr_workgroup_id_z 0
		.amdhsa_system_sgpr_workgroup_info 0
		.amdhsa_system_vgpr_workitem_id 1
		.amdhsa_next_free_vgpr 24
		.amdhsa_next_free_sgpr 35
		.amdhsa_accum_offset 24
		.amdhsa_reserve_vcc 1
		.amdhsa_float_round_mode_32 0
		.amdhsa_float_round_mode_16_64 0
		.amdhsa_float_denorm_mode_32 3
		.amdhsa_float_denorm_mode_16_64 3
		.amdhsa_dx10_clamp 1
		.amdhsa_ieee_mode 1
		.amdhsa_fp16_overflow 0
		.amdhsa_tg_split 0
		.amdhsa_exception_fp_ieee_invalid_op 0
		.amdhsa_exception_fp_denorm_src 0
		.amdhsa_exception_fp_ieee_div_zero 0
		.amdhsa_exception_fp_ieee_overflow 0
		.amdhsa_exception_fp_ieee_underflow 0
		.amdhsa_exception_fp_ieee_inexact 0
		.amdhsa_exception_int_div_zero 0
	.end_amdhsa_kernel
	.section	.text._ZN2at6native32tensor_kernel_scan_innermost_dimIdSt4plusIdEEEvPT_PKS4_jjjS4_T0_,"axG",@progbits,_ZN2at6native32tensor_kernel_scan_innermost_dimIdSt4plusIdEEEvPT_PKS4_jjjS4_T0_,comdat
.Lfunc_end63:
	.size	_ZN2at6native32tensor_kernel_scan_innermost_dimIdSt4plusIdEEEvPT_PKS4_jjjS4_T0_, .Lfunc_end63-_ZN2at6native32tensor_kernel_scan_innermost_dimIdSt4plusIdEEEvPT_PKS4_jjjS4_T0_
                                        ; -- End function
	.set _ZN2at6native32tensor_kernel_scan_innermost_dimIdSt4plusIdEEEvPT_PKS4_jjjS4_T0_.num_vgpr, 24
	.set _ZN2at6native32tensor_kernel_scan_innermost_dimIdSt4plusIdEEEvPT_PKS4_jjjS4_T0_.num_agpr, 0
	.set _ZN2at6native32tensor_kernel_scan_innermost_dimIdSt4plusIdEEEvPT_PKS4_jjjS4_T0_.numbered_sgpr, 35
	.set _ZN2at6native32tensor_kernel_scan_innermost_dimIdSt4plusIdEEEvPT_PKS4_jjjS4_T0_.num_named_barrier, 0
	.set _ZN2at6native32tensor_kernel_scan_innermost_dimIdSt4plusIdEEEvPT_PKS4_jjjS4_T0_.private_seg_size, 0
	.set _ZN2at6native32tensor_kernel_scan_innermost_dimIdSt4plusIdEEEvPT_PKS4_jjjS4_T0_.uses_vcc, 1
	.set _ZN2at6native32tensor_kernel_scan_innermost_dimIdSt4plusIdEEEvPT_PKS4_jjjS4_T0_.uses_flat_scratch, 0
	.set _ZN2at6native32tensor_kernel_scan_innermost_dimIdSt4plusIdEEEvPT_PKS4_jjjS4_T0_.has_dyn_sized_stack, 0
	.set _ZN2at6native32tensor_kernel_scan_innermost_dimIdSt4plusIdEEEvPT_PKS4_jjjS4_T0_.has_recursion, 0
	.set _ZN2at6native32tensor_kernel_scan_innermost_dimIdSt4plusIdEEEvPT_PKS4_jjjS4_T0_.has_indirect_call, 0
	.section	.AMDGPU.csdata,"",@progbits
; Kernel info:
; codeLenInByte = 1648
; TotalNumSgprs: 41
; NumVgprs: 24
; NumAgprs: 0
; TotalNumVgprs: 24
; ScratchSize: 0
; MemoryBound: 0
; FloatMode: 240
; IeeeMode: 1
; LDSByteSize: 0 bytes/workgroup (compile time only)
; SGPRBlocks: 5
; VGPRBlocks: 2
; NumSGPRsForWavesPerEU: 41
; NumVGPRsForWavesPerEU: 24
; AccumOffset: 24
; Occupancy: 8
; WaveLimiterHint : 0
; COMPUTE_PGM_RSRC2:SCRATCH_EN: 0
; COMPUTE_PGM_RSRC2:USER_SGPR: 2
; COMPUTE_PGM_RSRC2:TRAP_HANDLER: 0
; COMPUTE_PGM_RSRC2:TGID_X_EN: 1
; COMPUTE_PGM_RSRC2:TGID_Y_EN: 0
; COMPUTE_PGM_RSRC2:TGID_Z_EN: 0
; COMPUTE_PGM_RSRC2:TIDIG_COMP_CNT: 1
; COMPUTE_PGM_RSRC3_GFX90A:ACCUM_OFFSET: 5
; COMPUTE_PGM_RSRC3_GFX90A:TG_SPLIT: 0
	.section	.text._ZN2at6native28tensor_kernel_scan_outer_dimIdjSt4plusIdEEEvPT_PKS4_jjjS4_T1_,"axG",@progbits,_ZN2at6native28tensor_kernel_scan_outer_dimIdjSt4plusIdEEEvPT_PKS4_jjjS4_T1_,comdat
	.protected	_ZN2at6native28tensor_kernel_scan_outer_dimIdjSt4plusIdEEEvPT_PKS4_jjjS4_T1_ ; -- Begin function _ZN2at6native28tensor_kernel_scan_outer_dimIdjSt4plusIdEEEvPT_PKS4_jjjS4_T1_
	.globl	_ZN2at6native28tensor_kernel_scan_outer_dimIdjSt4plusIdEEEvPT_PKS4_jjjS4_T1_
	.p2align	8
	.type	_ZN2at6native28tensor_kernel_scan_outer_dimIdjSt4plusIdEEEvPT_PKS4_jjjS4_T1_,@function
_ZN2at6native28tensor_kernel_scan_outer_dimIdjSt4plusIdEEEvPT_PKS4_jjjS4_T1_: ; @_ZN2at6native28tensor_kernel_scan_outer_dimIdjSt4plusIdEEEvPT_PKS4_jjjS4_T1_
; %bb.0:
	s_load_dwordx4 s[8:11], s[0:1], 0x10
	s_waitcnt lgkmcnt(0)
	s_cmp_ge_u32 s2, s8
	s_cbranch_scc1 .LBB64_9
; %bb.1:
	s_load_dword s11, s[0:1], 0x30
	s_load_dword s4, s[0:1], 0x3c
	s_load_dwordx4 s[12:15], s[0:1], 0x0
	s_load_dwordx2 s[6:7], s[0:1], 0x20
	s_add_u32 s16, s0, 48
	s_addc_u32 s17, s1, 0
	s_waitcnt lgkmcnt(0)
	s_and_b32 s28, s4, 0xffff
	s_mul_i32 s3, s3, s28
	s_cmp_lg_u32 s10, 0
	v_add_u32_e32 v6, s3, v0
	s_cselect_b64 s[4:5], -1, 0
	s_mul_i32 s3, s2, s10
	s_mov_b32 s19, 0
	s_mov_b32 s18, s9
	s_mul_i32 s22, s3, s9
	s_mul_i32 s3, s11, s10
	v_cndmask_b32_e64 v0, 0, 1, s[4:5]
	v_cmp_gt_u32_e64 s[0:1], s9, v6
	s_mul_i32 s3, s3, s9
	s_lshl_b64 s[20:21], s[18:19], 3
	v_cmp_ne_u32_e64 s[4:5], 1, v0
	v_mov_b32_e32 v1, 0
	s_mov_b32 s18, s22
	s_branch .LBB64_3
.LBB64_2:                               ;   in Loop: Header=BB64_3 Depth=1
	s_or_b64 exec, exec, s[22:23]
	s_add_i32 s2, s11, s2
	s_add_i32 s18, s18, s3
	s_cmp_ge_u32 s2, s8
	s_cbranch_scc1 .LBB64_9
.LBB64_3:                               ; =>This Loop Header: Depth=1
                                        ;     Child Loop BB64_6 Depth 2
                                        ;       Child Loop BB64_8 Depth 3
	s_and_saveexec_b64 s[22:23], s[0:1]
	s_cbranch_execz .LBB64_2
; %bb.4:                                ;   in Loop: Header=BB64_3 Depth=1
	s_load_dword s29, s[16:17], 0x4
	s_lshl_b64 s[24:25], s[18:19], 3
	s_mov_b64 s[26:27], 0
	v_mov_b32_e32 v0, v6
	s_waitcnt lgkmcnt(0)
	s_mul_i32 s29, s29, s28
	s_branch .LBB64_6
.LBB64_5:                               ;   in Loop: Header=BB64_6 Depth=2
	v_add_u32_e32 v0, s29, v0
	v_cmp_le_u32_e32 vcc, s9, v0
	s_or_b64 s[26:27], vcc, s[26:27]
	s_andn2_b64 exec, exec, s[26:27]
	s_cbranch_execz .LBB64_2
.LBB64_6:                               ;   Parent Loop BB64_3 Depth=1
                                        ; =>  This Loop Header: Depth=2
                                        ;       Child Loop BB64_8 Depth 3
	s_and_b64 vcc, exec, s[4:5]
	s_cbranch_vccnz .LBB64_5
; %bb.7:                                ;   in Loop: Header=BB64_6 Depth=2
	v_lshl_add_u64 v[2:3], v[0:1], 3, s[24:25]
	v_mov_b64_e32 v[4:5], s[6:7]
	s_mov_b32 s30, s10
.LBB64_8:                               ;   Parent Loop BB64_3 Depth=1
                                        ;     Parent Loop BB64_6 Depth=2
                                        ; =>    This Inner Loop Header: Depth=3
	v_lshl_add_u64 v[8:9], s[14:15], 0, v[2:3]
	global_load_dwordx2 v[8:9], v[8:9], off
	s_add_i32 s30, s30, -1
	v_lshl_add_u64 v[10:11], s[12:13], 0, v[2:3]
	v_lshl_add_u64 v[2:3], v[2:3], 0, s[20:21]
	s_cmp_eq_u32 s30, 0
	s_waitcnt vmcnt(0)
	v_add_f64 v[4:5], v[4:5], v[8:9]
	global_store_dwordx2 v[10:11], v[4:5], off
	s_cbranch_scc0 .LBB64_8
	s_branch .LBB64_5
.LBB64_9:
	s_endpgm
	.section	.rodata,"a",@progbits
	.p2align	6, 0x0
	.amdhsa_kernel _ZN2at6native28tensor_kernel_scan_outer_dimIdjSt4plusIdEEEvPT_PKS4_jjjS4_T1_
		.amdhsa_group_segment_fixed_size 0
		.amdhsa_private_segment_fixed_size 0
		.amdhsa_kernarg_size 304
		.amdhsa_user_sgpr_count 2
		.amdhsa_user_sgpr_dispatch_ptr 0
		.amdhsa_user_sgpr_queue_ptr 0
		.amdhsa_user_sgpr_kernarg_segment_ptr 1
		.amdhsa_user_sgpr_dispatch_id 0
		.amdhsa_user_sgpr_kernarg_preload_length 0
		.amdhsa_user_sgpr_kernarg_preload_offset 0
		.amdhsa_user_sgpr_private_segment_size 0
		.amdhsa_uses_dynamic_stack 0
		.amdhsa_enable_private_segment 0
		.amdhsa_system_sgpr_workgroup_id_x 1
		.amdhsa_system_sgpr_workgroup_id_y 1
		.amdhsa_system_sgpr_workgroup_id_z 0
		.amdhsa_system_sgpr_workgroup_info 0
		.amdhsa_system_vgpr_workitem_id 0
		.amdhsa_next_free_vgpr 12
		.amdhsa_next_free_sgpr 31
		.amdhsa_accum_offset 12
		.amdhsa_reserve_vcc 1
		.amdhsa_float_round_mode_32 0
		.amdhsa_float_round_mode_16_64 0
		.amdhsa_float_denorm_mode_32 3
		.amdhsa_float_denorm_mode_16_64 3
		.amdhsa_dx10_clamp 1
		.amdhsa_ieee_mode 1
		.amdhsa_fp16_overflow 0
		.amdhsa_tg_split 0
		.amdhsa_exception_fp_ieee_invalid_op 0
		.amdhsa_exception_fp_denorm_src 0
		.amdhsa_exception_fp_ieee_div_zero 0
		.amdhsa_exception_fp_ieee_overflow 0
		.amdhsa_exception_fp_ieee_underflow 0
		.amdhsa_exception_fp_ieee_inexact 0
		.amdhsa_exception_int_div_zero 0
	.end_amdhsa_kernel
	.section	.text._ZN2at6native28tensor_kernel_scan_outer_dimIdjSt4plusIdEEEvPT_PKS4_jjjS4_T1_,"axG",@progbits,_ZN2at6native28tensor_kernel_scan_outer_dimIdjSt4plusIdEEEvPT_PKS4_jjjS4_T1_,comdat
.Lfunc_end64:
	.size	_ZN2at6native28tensor_kernel_scan_outer_dimIdjSt4plusIdEEEvPT_PKS4_jjjS4_T1_, .Lfunc_end64-_ZN2at6native28tensor_kernel_scan_outer_dimIdjSt4plusIdEEEvPT_PKS4_jjjS4_T1_
                                        ; -- End function
	.set _ZN2at6native28tensor_kernel_scan_outer_dimIdjSt4plusIdEEEvPT_PKS4_jjjS4_T1_.num_vgpr, 12
	.set _ZN2at6native28tensor_kernel_scan_outer_dimIdjSt4plusIdEEEvPT_PKS4_jjjS4_T1_.num_agpr, 0
	.set _ZN2at6native28tensor_kernel_scan_outer_dimIdjSt4plusIdEEEvPT_PKS4_jjjS4_T1_.numbered_sgpr, 31
	.set _ZN2at6native28tensor_kernel_scan_outer_dimIdjSt4plusIdEEEvPT_PKS4_jjjS4_T1_.num_named_barrier, 0
	.set _ZN2at6native28tensor_kernel_scan_outer_dimIdjSt4plusIdEEEvPT_PKS4_jjjS4_T1_.private_seg_size, 0
	.set _ZN2at6native28tensor_kernel_scan_outer_dimIdjSt4plusIdEEEvPT_PKS4_jjjS4_T1_.uses_vcc, 1
	.set _ZN2at6native28tensor_kernel_scan_outer_dimIdjSt4plusIdEEEvPT_PKS4_jjjS4_T1_.uses_flat_scratch, 0
	.set _ZN2at6native28tensor_kernel_scan_outer_dimIdjSt4plusIdEEEvPT_PKS4_jjjS4_T1_.has_dyn_sized_stack, 0
	.set _ZN2at6native28tensor_kernel_scan_outer_dimIdjSt4plusIdEEEvPT_PKS4_jjjS4_T1_.has_recursion, 0
	.set _ZN2at6native28tensor_kernel_scan_outer_dimIdjSt4plusIdEEEvPT_PKS4_jjjS4_T1_.has_indirect_call, 0
	.section	.AMDGPU.csdata,"",@progbits
; Kernel info:
; codeLenInByte = 328
; TotalNumSgprs: 37
; NumVgprs: 12
; NumAgprs: 0
; TotalNumVgprs: 12
; ScratchSize: 0
; MemoryBound: 0
; FloatMode: 240
; IeeeMode: 1
; LDSByteSize: 0 bytes/workgroup (compile time only)
; SGPRBlocks: 4
; VGPRBlocks: 1
; NumSGPRsForWavesPerEU: 37
; NumVGPRsForWavesPerEU: 12
; AccumOffset: 12
; Occupancy: 8
; WaveLimiterHint : 0
; COMPUTE_PGM_RSRC2:SCRATCH_EN: 0
; COMPUTE_PGM_RSRC2:USER_SGPR: 2
; COMPUTE_PGM_RSRC2:TRAP_HANDLER: 0
; COMPUTE_PGM_RSRC2:TGID_X_EN: 1
; COMPUTE_PGM_RSRC2:TGID_Y_EN: 1
; COMPUTE_PGM_RSRC2:TGID_Z_EN: 0
; COMPUTE_PGM_RSRC2:TIDIG_COMP_CNT: 0
; COMPUTE_PGM_RSRC3_GFX90A:ACCUM_OFFSET: 2
; COMPUTE_PGM_RSRC3_GFX90A:TG_SPLIT: 0
	.section	.text._ZN2at6native28tensor_kernel_scan_outer_dimIdmSt4plusIdEEEvPT_PKS4_jjjS4_T1_,"axG",@progbits,_ZN2at6native28tensor_kernel_scan_outer_dimIdmSt4plusIdEEEvPT_PKS4_jjjS4_T1_,comdat
	.protected	_ZN2at6native28tensor_kernel_scan_outer_dimIdmSt4plusIdEEEvPT_PKS4_jjjS4_T1_ ; -- Begin function _ZN2at6native28tensor_kernel_scan_outer_dimIdmSt4plusIdEEEvPT_PKS4_jjjS4_T1_
	.globl	_ZN2at6native28tensor_kernel_scan_outer_dimIdmSt4plusIdEEEvPT_PKS4_jjjS4_T1_
	.p2align	8
	.type	_ZN2at6native28tensor_kernel_scan_outer_dimIdmSt4plusIdEEEvPT_PKS4_jjjS4_T1_,@function
_ZN2at6native28tensor_kernel_scan_outer_dimIdmSt4plusIdEEEvPT_PKS4_jjjS4_T1_: ; @_ZN2at6native28tensor_kernel_scan_outer_dimIdmSt4plusIdEEEvPT_PKS4_jjjS4_T1_
; %bb.0:
	s_load_dwordx4 s[8:11], s[0:1], 0x10
	s_waitcnt lgkmcnt(0)
	s_cmp_ge_u32 s2, s8
	s_cbranch_scc1 .LBB65_9
; %bb.1:
	s_load_dword s11, s[0:1], 0x30
	s_load_dword s4, s[0:1], 0x3c
	s_load_dwordx4 s[12:15], s[0:1], 0x0
	s_load_dwordx2 s[6:7], s[0:1], 0x20
	s_add_u32 s16, s0, 48
	s_addc_u32 s17, s1, 0
	s_waitcnt lgkmcnt(0)
	s_and_b32 s28, s4, 0xffff
	s_cmp_lg_u32 s10, 0
	s_mul_i32 s3, s3, s28
	s_cselect_b64 s[22:23], -1, 0
	v_add_u32_e32 v6, s3, v0
	s_mov_b32 s5, 0
	s_mov_b32 s4, s9
	s_mul_hi_u32 s19, s10, s9
	s_mul_i32 s18, s10, s9
	v_cndmask_b32_e64 v0, 0, 1, s[22:23]
	v_cmp_gt_u32_e64 s[0:1], s9, v6
	s_lshl_b64 s[18:19], s[18:19], 3
	s_lshl_b64 s[20:21], s[4:5], 3
	v_cmp_ne_u32_e64 s[4:5], 1, v0
	v_mov_b32_e32 v1, 0
	s_branch .LBB65_3
.LBB65_2:                               ;   in Loop: Header=BB65_3 Depth=1
	s_or_b64 exec, exec, s[22:23]
	s_add_i32 s2, s2, s11
	s_cmp_ge_u32 s2, s8
	s_cbranch_scc1 .LBB65_9
.LBB65_3:                               ; =>This Loop Header: Depth=1
                                        ;     Child Loop BB65_6 Depth 2
                                        ;       Child Loop BB65_8 Depth 3
	s_and_saveexec_b64 s[22:23], s[0:1]
	s_cbranch_execz .LBB65_2
; %bb.4:                                ;   in Loop: Header=BB65_3 Depth=1
	s_load_dword s3, s[16:17], 0x4
	s_mul_i32 s25, s19, s2
	s_mul_hi_u32 s26, s18, s2
	s_mul_i32 s24, s18, s2
	s_add_i32 s25, s26, s25
	s_waitcnt lgkmcnt(0)
	s_mul_i32 s3, s3, s28
	s_mov_b64 s[26:27], 0
	v_mov_b32_e32 v0, v6
	s_branch .LBB65_6
.LBB65_5:                               ;   in Loop: Header=BB65_6 Depth=2
	v_add_u32_e32 v0, s3, v0
	v_cmp_le_u32_e32 vcc, s9, v0
	s_or_b64 s[26:27], vcc, s[26:27]
	s_andn2_b64 exec, exec, s[26:27]
	s_cbranch_execz .LBB65_2
.LBB65_6:                               ;   Parent Loop BB65_3 Depth=1
                                        ; =>  This Loop Header: Depth=2
                                        ;       Child Loop BB65_8 Depth 3
	s_and_b64 vcc, exec, s[4:5]
	s_cbranch_vccnz .LBB65_5
; %bb.7:                                ;   in Loop: Header=BB65_6 Depth=2
	v_lshl_add_u64 v[2:3], v[0:1], 3, s[24:25]
	v_mov_b64_e32 v[4:5], s[6:7]
	s_mov_b32 s29, s10
.LBB65_8:                               ;   Parent Loop BB65_3 Depth=1
                                        ;     Parent Loop BB65_6 Depth=2
                                        ; =>    This Inner Loop Header: Depth=3
	v_lshl_add_u64 v[8:9], s[14:15], 0, v[2:3]
	global_load_dwordx2 v[8:9], v[8:9], off
	s_add_i32 s29, s29, -1
	v_lshl_add_u64 v[10:11], s[12:13], 0, v[2:3]
	v_lshl_add_u64 v[2:3], v[2:3], 0, s[20:21]
	s_cmp_eq_u32 s29, 0
	s_waitcnt vmcnt(0)
	v_add_f64 v[4:5], v[4:5], v[8:9]
	global_store_dwordx2 v[10:11], v[4:5], off
	s_cbranch_scc0 .LBB65_8
	s_branch .LBB65_5
.LBB65_9:
	s_endpgm
	.section	.rodata,"a",@progbits
	.p2align	6, 0x0
	.amdhsa_kernel _ZN2at6native28tensor_kernel_scan_outer_dimIdmSt4plusIdEEEvPT_PKS4_jjjS4_T1_
		.amdhsa_group_segment_fixed_size 0
		.amdhsa_private_segment_fixed_size 0
		.amdhsa_kernarg_size 304
		.amdhsa_user_sgpr_count 2
		.amdhsa_user_sgpr_dispatch_ptr 0
		.amdhsa_user_sgpr_queue_ptr 0
		.amdhsa_user_sgpr_kernarg_segment_ptr 1
		.amdhsa_user_sgpr_dispatch_id 0
		.amdhsa_user_sgpr_kernarg_preload_length 0
		.amdhsa_user_sgpr_kernarg_preload_offset 0
		.amdhsa_user_sgpr_private_segment_size 0
		.amdhsa_uses_dynamic_stack 0
		.amdhsa_enable_private_segment 0
		.amdhsa_system_sgpr_workgroup_id_x 1
		.amdhsa_system_sgpr_workgroup_id_y 1
		.amdhsa_system_sgpr_workgroup_id_z 0
		.amdhsa_system_sgpr_workgroup_info 0
		.amdhsa_system_vgpr_workitem_id 0
		.amdhsa_next_free_vgpr 12
		.amdhsa_next_free_sgpr 30
		.amdhsa_accum_offset 12
		.amdhsa_reserve_vcc 1
		.amdhsa_float_round_mode_32 0
		.amdhsa_float_round_mode_16_64 0
		.amdhsa_float_denorm_mode_32 3
		.amdhsa_float_denorm_mode_16_64 3
		.amdhsa_dx10_clamp 1
		.amdhsa_ieee_mode 1
		.amdhsa_fp16_overflow 0
		.amdhsa_tg_split 0
		.amdhsa_exception_fp_ieee_invalid_op 0
		.amdhsa_exception_fp_denorm_src 0
		.amdhsa_exception_fp_ieee_div_zero 0
		.amdhsa_exception_fp_ieee_overflow 0
		.amdhsa_exception_fp_ieee_underflow 0
		.amdhsa_exception_fp_ieee_inexact 0
		.amdhsa_exception_int_div_zero 0
	.end_amdhsa_kernel
	.section	.text._ZN2at6native28tensor_kernel_scan_outer_dimIdmSt4plusIdEEEvPT_PKS4_jjjS4_T1_,"axG",@progbits,_ZN2at6native28tensor_kernel_scan_outer_dimIdmSt4plusIdEEEvPT_PKS4_jjjS4_T1_,comdat
.Lfunc_end65:
	.size	_ZN2at6native28tensor_kernel_scan_outer_dimIdmSt4plusIdEEEvPT_PKS4_jjjS4_T1_, .Lfunc_end65-_ZN2at6native28tensor_kernel_scan_outer_dimIdmSt4plusIdEEEvPT_PKS4_jjjS4_T1_
                                        ; -- End function
	.set _ZN2at6native28tensor_kernel_scan_outer_dimIdmSt4plusIdEEEvPT_PKS4_jjjS4_T1_.num_vgpr, 12
	.set _ZN2at6native28tensor_kernel_scan_outer_dimIdmSt4plusIdEEEvPT_PKS4_jjjS4_T1_.num_agpr, 0
	.set _ZN2at6native28tensor_kernel_scan_outer_dimIdmSt4plusIdEEEvPT_PKS4_jjjS4_T1_.numbered_sgpr, 30
	.set _ZN2at6native28tensor_kernel_scan_outer_dimIdmSt4plusIdEEEvPT_PKS4_jjjS4_T1_.num_named_barrier, 0
	.set _ZN2at6native28tensor_kernel_scan_outer_dimIdmSt4plusIdEEEvPT_PKS4_jjjS4_T1_.private_seg_size, 0
	.set _ZN2at6native28tensor_kernel_scan_outer_dimIdmSt4plusIdEEEvPT_PKS4_jjjS4_T1_.uses_vcc, 1
	.set _ZN2at6native28tensor_kernel_scan_outer_dimIdmSt4plusIdEEEvPT_PKS4_jjjS4_T1_.uses_flat_scratch, 0
	.set _ZN2at6native28tensor_kernel_scan_outer_dimIdmSt4plusIdEEEvPT_PKS4_jjjS4_T1_.has_dyn_sized_stack, 0
	.set _ZN2at6native28tensor_kernel_scan_outer_dimIdmSt4plusIdEEEvPT_PKS4_jjjS4_T1_.has_recursion, 0
	.set _ZN2at6native28tensor_kernel_scan_outer_dimIdmSt4plusIdEEEvPT_PKS4_jjjS4_T1_.has_indirect_call, 0
	.section	.AMDGPU.csdata,"",@progbits
; Kernel info:
; codeLenInByte = 328
; TotalNumSgprs: 36
; NumVgprs: 12
; NumAgprs: 0
; TotalNumVgprs: 12
; ScratchSize: 0
; MemoryBound: 0
; FloatMode: 240
; IeeeMode: 1
; LDSByteSize: 0 bytes/workgroup (compile time only)
; SGPRBlocks: 4
; VGPRBlocks: 1
; NumSGPRsForWavesPerEU: 36
; NumVGPRsForWavesPerEU: 12
; AccumOffset: 12
; Occupancy: 8
; WaveLimiterHint : 0
; COMPUTE_PGM_RSRC2:SCRATCH_EN: 0
; COMPUTE_PGM_RSRC2:USER_SGPR: 2
; COMPUTE_PGM_RSRC2:TRAP_HANDLER: 0
; COMPUTE_PGM_RSRC2:TGID_X_EN: 1
; COMPUTE_PGM_RSRC2:TGID_Y_EN: 1
; COMPUTE_PGM_RSRC2:TGID_Z_EN: 0
; COMPUTE_PGM_RSRC2:TIDIG_COMP_CNT: 0
; COMPUTE_PGM_RSRC3_GFX90A:ACCUM_OFFSET: 2
; COMPUTE_PGM_RSRC3_GFX90A:TG_SPLIT: 0
	.section	.text._ZN2at4cuda3cub15calc_block_sumsILi512ELi16ELb0EffEEvPKT2_PT3_li,"axG",@progbits,_ZN2at4cuda3cub15calc_block_sumsILi512ELi16ELb0EffEEvPKT2_PT3_li,comdat
	.protected	_ZN2at4cuda3cub15calc_block_sumsILi512ELi16ELb0EffEEvPKT2_PT3_li ; -- Begin function _ZN2at4cuda3cub15calc_block_sumsILi512ELi16ELb0EffEEvPKT2_PT3_li
	.globl	_ZN2at4cuda3cub15calc_block_sumsILi512ELi16ELb0EffEEvPKT2_PT3_li
	.p2align	8
	.type	_ZN2at4cuda3cub15calc_block_sumsILi512ELi16ELb0EffEEvPKT2_PT3_li,@function
_ZN2at4cuda3cub15calc_block_sumsILi512ELi16ELb0EffEEvPKT2_PT3_li: ; @_ZN2at4cuda3cub15calc_block_sumsILi512ELi16ELb0EffEEvPKT2_PT3_li
; %bb.0:
	s_load_dword s14, s[0:1], 0x18
	s_load_dwordx2 s[4:5], s[0:1], 0x10
	s_waitcnt lgkmcnt(0)
	s_lshl_b32 s3, s14, 13
	s_ashr_i32 s6, s3, 31
	s_mul_hi_u32 s7, s3, s2
	s_mul_i32 s6, s6, s2
	s_add_i32 s13, s7, s6
	s_mul_i32 s12, s3, s2
	s_sub_u32 s8, s4, s12
	s_subb_u32 s9, s5, s13
	v_cmp_lt_i64_e64 s[4:5], s[8:9], 1
	s_and_b64 vcc, exec, s[4:5]
	s_cbranch_vccnz .LBB66_54
; %bb.1:
	s_load_dwordx4 s[4:7], s[0:1], 0x0
	s_mov_b32 s3, 0
	s_mov_b64 s[10:11], -1
	s_cmp_gt_i32 s14, 0
	s_mov_b64 s[0:1], -1
	s_cbranch_scc1 .LBB66_3
; %bb.2:
	s_mov_b64 s[0:1], 0
.LBB66_3:
	s_andn2_b64 vcc, exec, s[0:1]
	v_mov_b32_e32 v29, 0
	s_cbranch_vccnz .LBB66_52
; %bb.4:
	v_lshrrev_b32_e32 v2, 4, v0
	s_lshl_b64 s[10:11], s[12:13], 2
	v_and_b32_e32 v41, 60, v2
	v_mov_b32_e32 v2, 0
	s_waitcnt lgkmcnt(0)
	s_add_u32 s4, s4, s10
	v_lshlrev_b32_e32 v4, 2, v0
	v_mov_b32_e32 v5, v2
	s_addc_u32 s5, s5, s11
	v_mbcnt_lo_u32_b32 v3, -1, 0
	v_add_u32_e32 v1, 0x200, v0
	v_or_b32_e32 v26, 0x400, v0
	v_add_u32_e32 v27, 0x600, v0
	v_or_b32_e32 v28, 0x800, v0
	;; [unrolled: 2-line block ×7, first 2 shown]
	v_add_u32_e32 v40, 0x1e00, v0
	v_cmp_gt_u32_e64 s[0:1], 64, v0
	v_lshl_add_u64 v[24:25], s[4:5], 0, v[4:5]
	v_mov_b64_e32 v[20:21], 0x2000
	s_mov_b64 s[4:5], 0x8000
	v_mbcnt_hi_u32_b32 v42, -1, v3
	v_mov_b64_e32 v[22:23], 0x2001
	v_mov_b32_e32 v29, 0
	s_branch .LBB66_6
.LBB66_5:                               ;   in Loop: Header=BB66_6 Depth=1
	s_add_u32 s8, s8, 0xffffe000
	s_addc_u32 s9, s9, -1
	s_add_i32 s14, s14, -1
	s_cmp_eq_u32 s14, 0
	v_lshl_add_u64 v[24:25], v[24:25], 0, s[4:5]
	s_mov_b64 s[10:11], -1
	s_cselect_b64 s[12:13], -1, 0
	s_barrier
	s_andn2_b64 vcc, exec, s[12:13]
	v_add_f32_e32 v29, v29, v3
	s_cbranch_vccz .LBB66_52
.LBB66_6:                               ; =>This Inner Loop Header: Depth=1
	v_cmp_lt_i64_e32 vcc, s[8:9], v[20:21]
	s_mov_b64 s[10:11], -1
                                        ; implicit-def: $vgpr3
	s_cbranch_vccnz .LBB66_9
; %bb.7:                                ;   in Loop: Header=BB66_6 Depth=1
	s_and_b64 vcc, exec, s[10:11]
	s_cbranch_vccnz .LBB66_31
.LBB66_8:                               ;   in Loop: Header=BB66_6 Depth=1
	v_cmp_lt_i64_e32 vcc, s[8:9], v[22:23]
	s_cbranch_vccz .LBB66_5
	s_branch .LBB66_36
.LBB66_9:                               ;   in Loop: Header=BB66_6 Depth=1
	v_mov_b32_e32 v4, v2
	v_mov_b32_e32 v5, v2
	;; [unrolled: 1-line block ×15, first 2 shown]
	v_mov_b64_e32 v[18:19], v[16:17]
	v_cmp_gt_u32_e32 vcc, s8, v0
	v_mov_b64_e32 v[16:17], v[14:15]
	v_mov_b64_e32 v[14:15], v[12:13]
	;; [unrolled: 1-line block ×7, first 2 shown]
	s_and_saveexec_b64 s[10:11], vcc
	s_cbranch_execnz .LBB66_37
; %bb.10:                               ;   in Loop: Header=BB66_6 Depth=1
	s_or_b64 exec, exec, s[10:11]
	v_cmp_gt_u32_e32 vcc, s8, v1
	s_and_saveexec_b64 s[10:11], vcc
	s_cbranch_execnz .LBB66_38
.LBB66_11:                              ;   in Loop: Header=BB66_6 Depth=1
	s_or_b64 exec, exec, s[10:11]
	v_cmp_gt_u32_e32 vcc, s8, v26
	s_and_saveexec_b64 s[10:11], vcc
	s_cbranch_execnz .LBB66_39
.LBB66_12:                              ;   in Loop: Header=BB66_6 Depth=1
	s_or_b64 exec, exec, s[10:11]
	v_cmp_gt_u32_e32 vcc, s8, v27
	s_and_saveexec_b64 s[10:11], vcc
	s_cbranch_execnz .LBB66_40
.LBB66_13:                              ;   in Loop: Header=BB66_6 Depth=1
	s_or_b64 exec, exec, s[10:11]
	v_cmp_gt_u32_e32 vcc, s8, v28
	s_and_saveexec_b64 s[10:11], vcc
	s_cbranch_execnz .LBB66_41
.LBB66_14:                              ;   in Loop: Header=BB66_6 Depth=1
	s_or_b64 exec, exec, s[10:11]
	v_cmp_gt_u32_e32 vcc, s8, v30
	s_and_saveexec_b64 s[10:11], vcc
	s_cbranch_execnz .LBB66_42
.LBB66_15:                              ;   in Loop: Header=BB66_6 Depth=1
	s_or_b64 exec, exec, s[10:11]
	v_cmp_gt_u32_e32 vcc, s8, v31
	s_and_saveexec_b64 s[10:11], vcc
	s_cbranch_execnz .LBB66_43
.LBB66_16:                              ;   in Loop: Header=BB66_6 Depth=1
	s_or_b64 exec, exec, s[10:11]
	v_cmp_gt_u32_e32 vcc, s8, v32
	s_and_saveexec_b64 s[10:11], vcc
	s_cbranch_execnz .LBB66_44
.LBB66_17:                              ;   in Loop: Header=BB66_6 Depth=1
	s_or_b64 exec, exec, s[10:11]
	v_cmp_gt_u32_e32 vcc, s8, v33
	s_and_saveexec_b64 s[10:11], vcc
	s_cbranch_execnz .LBB66_45
.LBB66_18:                              ;   in Loop: Header=BB66_6 Depth=1
	s_or_b64 exec, exec, s[10:11]
	v_cmp_gt_u32_e32 vcc, s8, v34
	s_and_saveexec_b64 s[10:11], vcc
	s_cbranch_execnz .LBB66_46
.LBB66_19:                              ;   in Loop: Header=BB66_6 Depth=1
	s_or_b64 exec, exec, s[10:11]
	v_cmp_gt_u32_e32 vcc, s8, v35
	s_and_saveexec_b64 s[10:11], vcc
	s_cbranch_execnz .LBB66_47
.LBB66_20:                              ;   in Loop: Header=BB66_6 Depth=1
	s_or_b64 exec, exec, s[10:11]
	v_cmp_gt_u32_e32 vcc, s8, v36
	s_and_saveexec_b64 s[10:11], vcc
	s_cbranch_execnz .LBB66_48
.LBB66_21:                              ;   in Loop: Header=BB66_6 Depth=1
	s_or_b64 exec, exec, s[10:11]
	v_cmp_gt_u32_e32 vcc, s8, v37
	s_and_saveexec_b64 s[10:11], vcc
	s_cbranch_execnz .LBB66_49
.LBB66_22:                              ;   in Loop: Header=BB66_6 Depth=1
	s_or_b64 exec, exec, s[10:11]
	v_cmp_gt_u32_e32 vcc, s8, v38
	s_and_saveexec_b64 s[10:11], vcc
	s_cbranch_execnz .LBB66_50
.LBB66_23:                              ;   in Loop: Header=BB66_6 Depth=1
	s_or_b64 exec, exec, s[10:11]
	v_cmp_gt_u32_e32 vcc, s8, v39
	s_and_saveexec_b64 s[10:11], vcc
	s_cbranch_execnz .LBB66_51
.LBB66_24:                              ;   in Loop: Header=BB66_6 Depth=1
	s_or_b64 exec, exec, s[10:11]
	v_cmp_gt_u32_e32 vcc, s8, v40
	s_and_saveexec_b64 s[10:11], vcc
	s_cbranch_execz .LBB66_26
.LBB66_25:                              ;   in Loop: Header=BB66_6 Depth=1
	v_add_co_u32_e32 v44, vcc, 0x7000, v24
	s_nop 1
	v_addc_co_u32_e32 v45, vcc, 0, v25, vcc
	global_load_dword v19, v[44:45], off offset:2048
.LBB66_26:                              ;   in Loop: Header=BB66_6 Depth=1
	s_or_b64 exec, exec, s[10:11]
	s_waitcnt vmcnt(0)
	v_add_f32_e32 v3, v4, v5
	v_add_f32_e32 v3, v6, v3
	;; [unrolled: 1-line block ×15, first 2 shown]
	v_cmp_eq_u32_e32 vcc, 0, v42
	s_nop 0
	v_mov_b32_dpp v4, v3 quad_perm:[1,0,3,2] row_mask:0xf bank_mask:0xf
	v_add_f32_e32 v3, v3, v4
	s_barrier
	s_nop 0
	v_mov_b32_dpp v4, v3 quad_perm:[2,3,0,1] row_mask:0xf bank_mask:0xf
	v_add_f32_e32 v3, v3, v4
	s_nop 1
	v_mov_b32_dpp v4, v3 row_ror:4 row_mask:0xf bank_mask:0xf
	v_add_f32_e32 v3, v3, v4
	s_nop 1
	v_mov_b32_dpp v4, v3 row_ror:8 row_mask:0xf bank_mask:0xf
	v_add_f32_e32 v3, v3, v4
	s_nop 1
	v_mov_b32_dpp v4, v3 row_bcast:15 row_mask:0xf bank_mask:0xf
	v_add_f32_e32 v3, v3, v4
	s_nop 1
	v_mov_b32_dpp v4, v3 row_bcast:31 row_mask:0xf bank_mask:0xf
	v_add_f32_e32 v3, v3, v4
	v_lshlrev_b32_e32 v4, 2, v42
	v_or_b32_e32 v5, 0xfc, v4
	ds_bpermute_b32 v3, v5, v3
	s_and_saveexec_b64 s[10:11], vcc
	s_cbranch_execz .LBB66_28
; %bb.27:                               ;   in Loop: Header=BB66_6 Depth=1
	s_waitcnt lgkmcnt(0)
	ds_write_b32 v41, v3
.LBB66_28:                              ;   in Loop: Header=BB66_6 Depth=1
	s_or_b64 exec, exec, s[10:11]
	s_waitcnt lgkmcnt(0)
	s_barrier
	s_and_saveexec_b64 s[10:11], s[0:1]
	s_cbranch_execz .LBB66_30
; %bb.29:                               ;   in Loop: Header=BB66_6 Depth=1
	v_and_b32_e32 v3, 7, v42
	v_lshlrev_b32_e32 v5, 2, v3
	ds_read_b32 v5, v5
	v_cmp_ne_u32_e32 vcc, 7, v3
	v_or_b32_e32 v4, 16, v4
	s_nop 0
	v_addc_co_u32_e32 v6, vcc, 0, v42, vcc
	v_lshlrev_b32_e32 v6, 2, v6
	s_waitcnt lgkmcnt(0)
	ds_bpermute_b32 v6, v6, v5
	v_cmp_gt_u32_e32 vcc, 6, v3
	s_waitcnt lgkmcnt(0)
	v_add_f32_e32 v5, v5, v6
	v_cndmask_b32_e64 v3, 0, 2, vcc
	v_add_lshl_u32 v3, v3, v42, 2
	ds_bpermute_b32 v3, v3, v5
	s_waitcnt lgkmcnt(0)
	v_add_f32_e32 v3, v5, v3
	ds_bpermute_b32 v4, v4, v3
	s_waitcnt lgkmcnt(0)
	v_add_f32_e32 v3, v3, v4
.LBB66_30:                              ;   in Loop: Header=BB66_6 Depth=1
	s_or_b64 exec, exec, s[10:11]
	s_branch .LBB66_8
.LBB66_31:                              ;   in Loop: Header=BB66_6 Depth=1
	global_load_dword v3, v[24:25], off
	global_load_dword v12, v[24:25], off offset:2048
	v_add_co_u32_e32 v4, vcc, 0x1000, v24
	s_waitcnt vmcnt(0)
	v_add_f32_e32 v3, v3, v12
	v_addc_co_u32_e32 v5, vcc, 0, v25, vcc
	v_add_co_u32_e32 v6, vcc, 0x2000, v24
	s_nop 1
	v_addc_co_u32_e32 v7, vcc, 0, v25, vcc
	v_add_co_u32_e32 v8, vcc, 0x3000, v24
	s_nop 1
	;; [unrolled: 3-line block ×3, first 2 shown]
	v_addc_co_u32_e32 v11, vcc, 0, v25, vcc
	global_load_dword v13, v[4:5], off
	global_load_dword v14, v[4:5], off offset:2048
	global_load_dword v15, v[6:7], off
	global_load_dword v16, v[6:7], off offset:2048
	;; [unrolled: 2-line block ×4, first 2 shown]
	v_add_co_u32_e32 v4, vcc, 0x5000, v24
	s_waitcnt vmcnt(7)
	v_add_f32_e32 v3, v3, v13
	v_addc_co_u32_e32 v5, vcc, 0, v25, vcc
	v_add_co_u32_e32 v6, vcc, 0x6000, v24
	s_waitcnt vmcnt(6)
	v_add_f32_e32 v3, v3, v14
	v_addc_co_u32_e32 v7, vcc, 0, v25, vcc
	;; [unrolled: 4-line block ×3, first 2 shown]
	global_load_dword v10, v[4:5], off
	global_load_dword v11, v[4:5], off offset:2048
	global_load_dword v44, v[6:7], off
	global_load_dword v45, v[6:7], off offset:2048
	;; [unrolled: 2-line block ×3, first 2 shown]
	s_waitcnt vmcnt(10)
	v_add_f32_e32 v3, v3, v16
	s_waitcnt vmcnt(9)
	v_add_f32_e32 v3, v3, v17
	;; [unrolled: 2-line block ×5, first 2 shown]
	v_lshlrev_b32_e32 v4, 2, v42
	v_cmp_eq_u32_e32 vcc, 0, v42
	s_barrier
	s_waitcnt vmcnt(5)
	v_add_f32_e32 v3, v3, v10
	s_waitcnt vmcnt(4)
	v_add_f32_e32 v3, v3, v11
	;; [unrolled: 2-line block ×6, first 2 shown]
	s_nop 1
	v_mov_b32_dpp v5, v3 quad_perm:[1,0,3,2] row_mask:0xf bank_mask:0xf
	v_add_f32_e32 v3, v3, v5
	s_nop 1
	v_mov_b32_dpp v5, v3 quad_perm:[2,3,0,1] row_mask:0xf bank_mask:0xf
	v_add_f32_e32 v3, v3, v5
	s_nop 1
	v_mov_b32_dpp v5, v3 row_ror:4 row_mask:0xf bank_mask:0xf
	v_add_f32_e32 v3, v3, v5
	s_nop 1
	v_mov_b32_dpp v5, v3 row_ror:8 row_mask:0xf bank_mask:0xf
	v_add_f32_e32 v3, v3, v5
	s_nop 1
	v_mov_b32_dpp v5, v3 row_bcast:15 row_mask:0xf bank_mask:0xf
	v_add_f32_e32 v3, v3, v5
	s_nop 1
	v_mov_b32_dpp v5, v3 row_bcast:31 row_mask:0xf bank_mask:0xf
	v_add_f32_e32 v3, v3, v5
	v_or_b32_e32 v5, 0xfc, v4
	ds_bpermute_b32 v3, v5, v3
	s_and_saveexec_b64 s[10:11], vcc
	s_cbranch_execz .LBB66_33
; %bb.32:                               ;   in Loop: Header=BB66_6 Depth=1
	s_waitcnt lgkmcnt(0)
	ds_write_b32 v41, v3
.LBB66_33:                              ;   in Loop: Header=BB66_6 Depth=1
	s_or_b64 exec, exec, s[10:11]
	s_waitcnt lgkmcnt(0)
	s_barrier
	s_and_saveexec_b64 s[10:11], s[0:1]
	s_cbranch_execz .LBB66_35
; %bb.34:                               ;   in Loop: Header=BB66_6 Depth=1
	v_and_b32_e32 v3, 7, v42
	v_lshlrev_b32_e32 v5, 2, v3
	ds_read_b32 v5, v5
	v_cmp_ne_u32_e32 vcc, 7, v3
	v_or_b32_e32 v4, 16, v4
	s_nop 0
	v_addc_co_u32_e32 v6, vcc, 0, v42, vcc
	v_lshlrev_b32_e32 v6, 2, v6
	s_waitcnt lgkmcnt(0)
	ds_bpermute_b32 v6, v6, v5
	v_cmp_gt_u32_e32 vcc, 6, v3
	s_waitcnt lgkmcnt(0)
	v_add_f32_e32 v5, v5, v6
	v_cndmask_b32_e64 v3, 0, 2, vcc
	v_add_lshl_u32 v3, v3, v42, 2
	ds_bpermute_b32 v3, v3, v5
	s_waitcnt lgkmcnt(0)
	v_add_f32_e32 v3, v5, v3
	ds_bpermute_b32 v4, v4, v3
	s_waitcnt lgkmcnt(0)
	v_add_f32_e32 v3, v3, v4
.LBB66_35:                              ;   in Loop: Header=BB66_6 Depth=1
	s_or_b64 exec, exec, s[10:11]
	v_cmp_lt_i64_e32 vcc, s[8:9], v[22:23]
	s_cbranch_vccz .LBB66_5
.LBB66_36:
	s_mov_b64 s[10:11], 0
                                        ; implicit-def: $sgpr8_sgpr9
                                        ; implicit-def: $sgpr14
                                        ; implicit-def: $vgpr24_vgpr25
	v_add_f32_e32 v29, v29, v3
	s_branch .LBB66_52
.LBB66_37:                              ;   in Loop: Header=BB66_6 Depth=1
	global_load_dword v4, v[24:25], off
	v_mov_b32_e32 v5, v2
	v_mov_b32_e32 v6, v2
	;; [unrolled: 1-line block ×15, first 2 shown]
	s_or_b64 exec, exec, s[10:11]
	v_cmp_gt_u32_e32 vcc, s8, v1
	s_and_saveexec_b64 s[10:11], vcc
	s_cbranch_execz .LBB66_11
.LBB66_38:                              ;   in Loop: Header=BB66_6 Depth=1
	global_load_dword v5, v[24:25], off offset:2048
	s_or_b64 exec, exec, s[10:11]
	v_cmp_gt_u32_e32 vcc, s8, v26
	s_and_saveexec_b64 s[10:11], vcc
	s_cbranch_execz .LBB66_12
.LBB66_39:                              ;   in Loop: Header=BB66_6 Depth=1
	v_add_co_u32_e32 v44, vcc, 0x1000, v24
	s_nop 1
	v_addc_co_u32_e32 v45, vcc, 0, v25, vcc
	global_load_dword v6, v[44:45], off
	s_or_b64 exec, exec, s[10:11]
	v_cmp_gt_u32_e32 vcc, s8, v27
	s_and_saveexec_b64 s[10:11], vcc
	s_cbranch_execz .LBB66_13
.LBB66_40:                              ;   in Loop: Header=BB66_6 Depth=1
	v_add_co_u32_e32 v44, vcc, 0x1000, v24
	s_nop 1
	v_addc_co_u32_e32 v45, vcc, 0, v25, vcc
	global_load_dword v7, v[44:45], off offset:2048
	s_or_b64 exec, exec, s[10:11]
	v_cmp_gt_u32_e32 vcc, s8, v28
	s_and_saveexec_b64 s[10:11], vcc
	s_cbranch_execz .LBB66_14
.LBB66_41:                              ;   in Loop: Header=BB66_6 Depth=1
	v_add_co_u32_e32 v44, vcc, 0x2000, v24
	s_nop 1
	v_addc_co_u32_e32 v45, vcc, 0, v25, vcc
	global_load_dword v8, v[44:45], off
	s_or_b64 exec, exec, s[10:11]
	v_cmp_gt_u32_e32 vcc, s8, v30
	s_and_saveexec_b64 s[10:11], vcc
	s_cbranch_execz .LBB66_15
.LBB66_42:                              ;   in Loop: Header=BB66_6 Depth=1
	v_add_co_u32_e32 v44, vcc, 0x2000, v24
	s_nop 1
	v_addc_co_u32_e32 v45, vcc, 0, v25, vcc
	global_load_dword v9, v[44:45], off offset:2048
	s_or_b64 exec, exec, s[10:11]
	v_cmp_gt_u32_e32 vcc, s8, v31
	s_and_saveexec_b64 s[10:11], vcc
	s_cbranch_execz .LBB66_16
.LBB66_43:                              ;   in Loop: Header=BB66_6 Depth=1
	v_add_co_u32_e32 v44, vcc, 0x3000, v24
	s_nop 1
	v_addc_co_u32_e32 v45, vcc, 0, v25, vcc
	global_load_dword v10, v[44:45], off
	s_or_b64 exec, exec, s[10:11]
	v_cmp_gt_u32_e32 vcc, s8, v32
	s_and_saveexec_b64 s[10:11], vcc
	s_cbranch_execz .LBB66_17
.LBB66_44:                              ;   in Loop: Header=BB66_6 Depth=1
	v_add_co_u32_e32 v44, vcc, 0x3000, v24
	s_nop 1
	v_addc_co_u32_e32 v45, vcc, 0, v25, vcc
	global_load_dword v11, v[44:45], off offset:2048
	s_or_b64 exec, exec, s[10:11]
	v_cmp_gt_u32_e32 vcc, s8, v33
	s_and_saveexec_b64 s[10:11], vcc
	s_cbranch_execz .LBB66_18
.LBB66_45:                              ;   in Loop: Header=BB66_6 Depth=1
	v_add_co_u32_e32 v44, vcc, 0x4000, v24
	s_nop 1
	v_addc_co_u32_e32 v45, vcc, 0, v25, vcc
	global_load_dword v12, v[44:45], off
	s_or_b64 exec, exec, s[10:11]
	v_cmp_gt_u32_e32 vcc, s8, v34
	s_and_saveexec_b64 s[10:11], vcc
	s_cbranch_execz .LBB66_19
.LBB66_46:                              ;   in Loop: Header=BB66_6 Depth=1
	v_add_co_u32_e32 v44, vcc, 0x4000, v24
	s_nop 1
	v_addc_co_u32_e32 v45, vcc, 0, v25, vcc
	global_load_dword v13, v[44:45], off offset:2048
	s_or_b64 exec, exec, s[10:11]
	v_cmp_gt_u32_e32 vcc, s8, v35
	s_and_saveexec_b64 s[10:11], vcc
	s_cbranch_execz .LBB66_20
.LBB66_47:                              ;   in Loop: Header=BB66_6 Depth=1
	v_add_co_u32_e32 v44, vcc, 0x5000, v24
	s_nop 1
	v_addc_co_u32_e32 v45, vcc, 0, v25, vcc
	global_load_dword v14, v[44:45], off
	s_or_b64 exec, exec, s[10:11]
	v_cmp_gt_u32_e32 vcc, s8, v36
	s_and_saveexec_b64 s[10:11], vcc
	s_cbranch_execz .LBB66_21
.LBB66_48:                              ;   in Loop: Header=BB66_6 Depth=1
	v_add_co_u32_e32 v44, vcc, 0x5000, v24
	s_nop 1
	v_addc_co_u32_e32 v45, vcc, 0, v25, vcc
	global_load_dword v15, v[44:45], off offset:2048
	s_or_b64 exec, exec, s[10:11]
	v_cmp_gt_u32_e32 vcc, s8, v37
	s_and_saveexec_b64 s[10:11], vcc
	s_cbranch_execz .LBB66_22
.LBB66_49:                              ;   in Loop: Header=BB66_6 Depth=1
	v_add_co_u32_e32 v44, vcc, 0x6000, v24
	s_nop 1
	v_addc_co_u32_e32 v45, vcc, 0, v25, vcc
	global_load_dword v16, v[44:45], off
	s_or_b64 exec, exec, s[10:11]
	v_cmp_gt_u32_e32 vcc, s8, v38
	s_and_saveexec_b64 s[10:11], vcc
	s_cbranch_execz .LBB66_23
.LBB66_50:                              ;   in Loop: Header=BB66_6 Depth=1
	v_add_co_u32_e32 v44, vcc, 0x6000, v24
	s_nop 1
	v_addc_co_u32_e32 v45, vcc, 0, v25, vcc
	global_load_dword v17, v[44:45], off offset:2048
	s_or_b64 exec, exec, s[10:11]
	v_cmp_gt_u32_e32 vcc, s8, v39
	s_and_saveexec_b64 s[10:11], vcc
	s_cbranch_execz .LBB66_24
.LBB66_51:                              ;   in Loop: Header=BB66_6 Depth=1
	v_add_co_u32_e32 v44, vcc, 0x7000, v24
	s_nop 1
	v_addc_co_u32_e32 v45, vcc, 0, v25, vcc
	global_load_dword v18, v[44:45], off
	s_or_b64 exec, exec, s[10:11]
	v_cmp_gt_u32_e32 vcc, s8, v40
	s_and_saveexec_b64 s[10:11], vcc
	s_cbranch_execnz .LBB66_25
	s_branch .LBB66_26
.LBB66_52:
	v_cmp_eq_u32_e32 vcc, 0, v0
	s_and_b64 s[0:1], vcc, s[10:11]
	s_waitcnt lgkmcnt(0)
	s_and_saveexec_b64 s[4:5], s[0:1]
	s_cbranch_execz .LBB66_54
; %bb.53:
	s_lshl_b64 s[0:1], s[2:3], 2
	s_add_u32 s0, s6, s0
	s_addc_u32 s1, s7, s1
	v_mov_b32_e32 v0, 0
	global_store_dword v0, v29, s[0:1]
.LBB66_54:
	s_endpgm
	.section	.rodata,"a",@progbits
	.p2align	6, 0x0
	.amdhsa_kernel _ZN2at4cuda3cub15calc_block_sumsILi512ELi16ELb0EffEEvPKT2_PT3_li
		.amdhsa_group_segment_fixed_size 32
		.amdhsa_private_segment_fixed_size 0
		.amdhsa_kernarg_size 28
		.amdhsa_user_sgpr_count 2
		.amdhsa_user_sgpr_dispatch_ptr 0
		.amdhsa_user_sgpr_queue_ptr 0
		.amdhsa_user_sgpr_kernarg_segment_ptr 1
		.amdhsa_user_sgpr_dispatch_id 0
		.amdhsa_user_sgpr_kernarg_preload_length 0
		.amdhsa_user_sgpr_kernarg_preload_offset 0
		.amdhsa_user_sgpr_private_segment_size 0
		.amdhsa_uses_dynamic_stack 0
		.amdhsa_enable_private_segment 0
		.amdhsa_system_sgpr_workgroup_id_x 1
		.amdhsa_system_sgpr_workgroup_id_y 0
		.amdhsa_system_sgpr_workgroup_id_z 0
		.amdhsa_system_sgpr_workgroup_info 0
		.amdhsa_system_vgpr_workitem_id 0
		.amdhsa_next_free_vgpr 48
		.amdhsa_next_free_sgpr 15
		.amdhsa_accum_offset 48
		.amdhsa_reserve_vcc 1
		.amdhsa_float_round_mode_32 0
		.amdhsa_float_round_mode_16_64 0
		.amdhsa_float_denorm_mode_32 3
		.amdhsa_float_denorm_mode_16_64 3
		.amdhsa_dx10_clamp 1
		.amdhsa_ieee_mode 1
		.amdhsa_fp16_overflow 0
		.amdhsa_tg_split 0
		.amdhsa_exception_fp_ieee_invalid_op 0
		.amdhsa_exception_fp_denorm_src 0
		.amdhsa_exception_fp_ieee_div_zero 0
		.amdhsa_exception_fp_ieee_overflow 0
		.amdhsa_exception_fp_ieee_underflow 0
		.amdhsa_exception_fp_ieee_inexact 0
		.amdhsa_exception_int_div_zero 0
	.end_amdhsa_kernel
	.section	.text._ZN2at4cuda3cub15calc_block_sumsILi512ELi16ELb0EffEEvPKT2_PT3_li,"axG",@progbits,_ZN2at4cuda3cub15calc_block_sumsILi512ELi16ELb0EffEEvPKT2_PT3_li,comdat
.Lfunc_end66:
	.size	_ZN2at4cuda3cub15calc_block_sumsILi512ELi16ELb0EffEEvPKT2_PT3_li, .Lfunc_end66-_ZN2at4cuda3cub15calc_block_sumsILi512ELi16ELb0EffEEvPKT2_PT3_li
                                        ; -- End function
	.set _ZN2at4cuda3cub15calc_block_sumsILi512ELi16ELb0EffEEvPKT2_PT3_li.num_vgpr, 48
	.set _ZN2at4cuda3cub15calc_block_sumsILi512ELi16ELb0EffEEvPKT2_PT3_li.num_agpr, 0
	.set _ZN2at4cuda3cub15calc_block_sumsILi512ELi16ELb0EffEEvPKT2_PT3_li.numbered_sgpr, 15
	.set _ZN2at4cuda3cub15calc_block_sumsILi512ELi16ELb0EffEEvPKT2_PT3_li.num_named_barrier, 0
	.set _ZN2at4cuda3cub15calc_block_sumsILi512ELi16ELb0EffEEvPKT2_PT3_li.private_seg_size, 0
	.set _ZN2at4cuda3cub15calc_block_sumsILi512ELi16ELb0EffEEvPKT2_PT3_li.uses_vcc, 1
	.set _ZN2at4cuda3cub15calc_block_sumsILi512ELi16ELb0EffEEvPKT2_PT3_li.uses_flat_scratch, 0
	.set _ZN2at4cuda3cub15calc_block_sumsILi512ELi16ELb0EffEEvPKT2_PT3_li.has_dyn_sized_stack, 0
	.set _ZN2at4cuda3cub15calc_block_sumsILi512ELi16ELb0EffEEvPKT2_PT3_li.has_recursion, 0
	.set _ZN2at4cuda3cub15calc_block_sumsILi512ELi16ELb0EffEEvPKT2_PT3_li.has_indirect_call, 0
	.section	.AMDGPU.csdata,"",@progbits
; Kernel info:
; codeLenInByte = 2452
; TotalNumSgprs: 21
; NumVgprs: 48
; NumAgprs: 0
; TotalNumVgprs: 48
; ScratchSize: 0
; MemoryBound: 0
; FloatMode: 240
; IeeeMode: 1
; LDSByteSize: 32 bytes/workgroup (compile time only)
; SGPRBlocks: 2
; VGPRBlocks: 5
; NumSGPRsForWavesPerEU: 21
; NumVGPRsForWavesPerEU: 48
; AccumOffset: 48
; Occupancy: 8
; WaveLimiterHint : 1
; COMPUTE_PGM_RSRC2:SCRATCH_EN: 0
; COMPUTE_PGM_RSRC2:USER_SGPR: 2
; COMPUTE_PGM_RSRC2:TRAP_HANDLER: 0
; COMPUTE_PGM_RSRC2:TGID_X_EN: 1
; COMPUTE_PGM_RSRC2:TGID_Y_EN: 0
; COMPUTE_PGM_RSRC2:TGID_Z_EN: 0
; COMPUTE_PGM_RSRC2:TIDIG_COMP_CNT: 0
; COMPUTE_PGM_RSRC3_GFX90A:ACCUM_OFFSET: 11
; COMPUTE_PGM_RSRC3_GFX90A:TG_SPLIT: 0
	.section	.text._ZN2at4cuda3cub17final_scan_kernelILi512ELi16EfEEvPKT1_PS3_S6_li,"axG",@progbits,_ZN2at4cuda3cub17final_scan_kernelILi512ELi16EfEEvPKT1_PS3_S6_li,comdat
	.protected	_ZN2at4cuda3cub17final_scan_kernelILi512ELi16EfEEvPKT1_PS3_S6_li ; -- Begin function _ZN2at4cuda3cub17final_scan_kernelILi512ELi16EfEEvPKT1_PS3_S6_li
	.globl	_ZN2at4cuda3cub17final_scan_kernelILi512ELi16EfEEvPKT1_PS3_S6_li
	.p2align	8
	.type	_ZN2at4cuda3cub17final_scan_kernelILi512ELi16EfEEvPKT1_PS3_S6_li,@function
_ZN2at4cuda3cub17final_scan_kernelILi512ELi16EfEEvPKT1_PS3_S6_li: ; @_ZN2at4cuda3cub17final_scan_kernelILi512ELi16EfEEvPKT1_PS3_S6_li
; %bb.0:
	s_load_dword s33, s[0:1], 0x20
	s_load_dwordx8 s[36:43], s[0:1], 0x0
	s_waitcnt lgkmcnt(0)
	s_lshl_b32 s3, s33, 13
	s_ashr_i32 s4, s3, 31
	s_mul_hi_u32 s5, s3, s2
	s_mul_i32 s4, s4, s2
	s_add_i32 s31, s5, s4
	s_mul_i32 s30, s3, s2
	s_sub_u32 s34, s42, s30
	s_subb_u32 s35, s43, s31
	v_cmp_lt_i64_e64 s[4:5], s[34:35], 1
	s_and_b64 vcc, exec, s[4:5]
	s_cbranch_vccnz .LBB67_98
; %bb.1:
	v_cmp_gt_u32_e32 vcc, s2, v0
	v_mov_b32_e32 v4, 0
	v_lshlrev_b32_e32 v28, 2, v0
	s_and_saveexec_b64 s[4:5], vcc
	s_cbranch_execz .LBB67_3
; %bb.2:
	global_load_dword v4, v28, s[40:41]
.LBB67_3:
	s_or_b64 exec, exec, s[4:5]
	s_load_dword s0, s[0:1], 0x34
	s_waitcnt lgkmcnt(0)
	s_and_b32 s3, s0, 0xffff
	v_add_u32_e32 v2, s3, v0
	v_cmp_gt_u32_e32 vcc, s2, v2
	s_and_saveexec_b64 s[0:1], vcc
	s_cbranch_execz .LBB67_7
; %bb.4:
	s_mov_b64 s[4:5], 0
	v_mov_b32_e32 v3, 0
.LBB67_5:                               ; =>This Inner Loop Header: Depth=1
	v_lshl_add_u64 v[6:7], v[2:3], 2, s[40:41]
	global_load_dword v1, v[6:7], off
	v_add_u32_e32 v2, s3, v2
	v_cmp_le_u32_e32 vcc, s2, v2
	s_or_b64 s[4:5], vcc, s[4:5]
	s_waitcnt vmcnt(0)
	v_add_f32_e32 v4, v4, v1
	s_andn2_b64 exec, exec, s[4:5]
	s_cbranch_execnz .LBB67_5
; %bb.6:
	s_or_b64 exec, exec, s[4:5]
.LBB67_7:
	s_or_b64 exec, exec, s[0:1]
	s_waitcnt vmcnt(0)
	v_mov_b32_dpp v2, v4 quad_perm:[1,0,3,2] row_mask:0xf bank_mask:0xf
	v_add_f32_e32 v2, v4, v2
	v_mbcnt_lo_u32_b32 v1, -1, 0
	v_mbcnt_hi_u32_b32 v1, -1, v1
	v_mov_b32_dpp v3, v2 quad_perm:[2,3,0,1] row_mask:0xf bank_mask:0xf
	v_add_f32_e32 v2, v2, v3
	v_lshlrev_b32_e32 v18, 2, v1
	v_cmp_eq_u32_e64 s[0:1], 0, v1
	v_mov_b32_dpp v3, v2 row_ror:4 row_mask:0xf bank_mask:0xf
	v_add_f32_e32 v2, v2, v3
	s_nop 1
	v_mov_b32_dpp v3, v2 row_ror:8 row_mask:0xf bank_mask:0xf
	v_add_f32_e32 v2, v2, v3
	s_nop 1
	v_mov_b32_dpp v3, v2 row_bcast:15 row_mask:0xf bank_mask:0xf
	v_add_f32_e32 v2, v2, v3
	s_nop 1
	v_mov_b32_dpp v3, v2 row_bcast:31 row_mask:0xf bank_mask:0xf
	v_add_f32_e32 v2, v2, v3
	v_or_b32_e32 v3, 0xfc, v18
	ds_bpermute_b32 v29, v3, v2
	s_and_saveexec_b64 s[2:3], s[0:1]
	s_cbranch_execz .LBB67_9
; %bb.8:
	v_lshrrev_b32_e32 v2, 4, v0
	v_and_b32_e32 v2, 60, v2
	s_waitcnt lgkmcnt(0)
	ds_write_b32 v2, v29
.LBB67_9:
	s_or_b64 exec, exec, s[2:3]
	v_cmp_lt_u32_e64 s[2:3], 63, v0
	v_cmp_gt_u32_e64 s[4:5], 64, v0
	v_and_b32_e32 v2, 7, v1
	s_waitcnt lgkmcnt(0)
	s_barrier
	s_and_saveexec_b64 s[6:7], s[4:5]
	s_cbranch_execz .LBB67_11
; %bb.10:
	v_lshlrev_b32_e32 v3, 2, v2
	ds_read_b32 v3, v3
	v_cmp_ne_u32_e32 vcc, 7, v2
	s_nop 1
	v_addc_co_u32_e32 v4, vcc, 0, v1, vcc
	v_lshlrev_b32_e32 v4, 2, v4
	s_waitcnt lgkmcnt(0)
	ds_bpermute_b32 v4, v4, v3
	v_cmp_gt_u32_e32 vcc, 6, v2
	s_waitcnt lgkmcnt(0)
	v_add_f32_e32 v3, v3, v4
	v_cndmask_b32_e64 v5, 0, 2, vcc
	v_add_lshl_u32 v5, v5, v1, 2
	ds_bpermute_b32 v4, v5, v3
	s_waitcnt lgkmcnt(0)
	v_add_f32_e32 v3, v3, v4
	v_or_b32_e32 v4, 16, v18
	ds_bpermute_b32 v4, v4, v3
	s_waitcnt lgkmcnt(0)
	v_add_f32_e32 v29, v3, v4
.LBB67_11:
	s_or_b64 exec, exec, s[6:7]
	s_cmp_lt_i32 s33, 1
	s_barrier
	s_cbranch_scc1 .LBB67_98
; %bb.12:
	v_lshlrev_b32_e32 v3, 4, v0
	s_movk_i32 s6, 0x3c00
	v_and_or_b32 v30, v3, s6, v1
	v_lshrrev_b32_e32 v3, 3, v30
	v_add_u32_e32 v31, 64, v30
	v_and_b32_e32 v3, 0x78c, v3
	v_lshlrev_b32_e32 v4, 2, v30
	v_add_u32_e32 v46, v3, v4
	v_lshrrev_b32_e32 v3, 3, v31
	v_or_b32_e32 v32, 0x80, v30
	v_and_b32_e32 v3, 0x79c, v3
	v_add_u32_e32 v47, v3, v4
	v_lshrrev_b32_e32 v3, 3, v32
	v_add_u32_e32 v33, 0xc0, v30
	v_and_b32_e32 v3, 0x79c, v3
	v_add_u32_e32 v48, v3, v4
	v_lshrrev_b32_e32 v3, 3, v33
	v_or_b32_e32 v34, 0x100, v30
	v_and_b32_e32 v3, 0x7bc, v3
	v_add_u32_e32 v49, v3, v4
	v_lshrrev_b32_e32 v3, 3, v34
	v_add_u32_e32 v35, 0x140, v30
	v_and_b32_e32 v3, 0x7ac, v3
	;; [unrolled: 8-line block ×7, first 2 shown]
	v_add_u32_e32 v60, v3, v4
	v_lshrrev_b32_e32 v3, 3, v45
	v_and_b32_e32 v3, 0xffc, v3
	v_add_u32_e32 v61, v3, v4
	v_and_b32_e32 v3, 0x3c0, v0
	v_add_u32_e32 v4, v1, v3
	v_lshlrev_b32_e32 v5, 4, v4
	v_bfe_u32 v4, v4, 1, 27
	v_min_u32_e32 v3, 0x1c0, v3
	v_add_lshl_u32 v62, v4, v5, 2
	v_and_b32_e32 v4, 15, v1
	v_or_b32_e32 v3, 63, v3
	v_cmp_eq_u32_e64 s[6:7], 0, v4
	v_cmp_lt_u32_e64 s[8:9], 1, v4
	v_cmp_lt_u32_e64 s[10:11], 3, v4
	v_cmp_lt_u32_e64 s[12:13], 7, v4
	v_and_b32_e32 v4, 16, v1
	v_cmp_eq_u32_e64 s[18:19], v0, v3
	v_cmp_eq_u32_e64 s[22:23], 0, v2
	v_cmp_lt_u32_e64 s[24:25], 1, v2
	v_cmp_lt_u32_e64 s[26:27], 3, v2
	v_add_u32_e32 v2, -1, v1
	v_and_b32_e32 v3, 64, v1
	v_cmp_eq_u32_e64 s[14:15], 0, v4
	v_lshrrev_b32_e32 v4, 6, v0
	v_cmp_gt_u32_e64 s[20:21], 8, v0
	v_cmp_lt_i32_e32 vcc, v2, v3
	v_cmp_eq_u32_e64 s[28:29], 0, v0
	v_mov_b32_e32 v0, 0
	v_cmp_lt_u32_e64 s[16:17], 31, v1
	v_cndmask_b32_e32 v1, v2, v1, vcc
	v_lshlrev_b32_e32 v2, 12, v4
	v_mov_b32_e32 v3, v0
	v_lshl_add_u64 v[2:3], s[30:31], 2, v[2:3]
	v_lshlrev_b32_e32 v63, 2, v4
	v_lshl_add_u64 v[4:5], s[38:39], 0, v[2:3]
	s_mov_b64 s[30:31], 0xf00
	v_lshlrev_b32_e32 v64, 2, v1
	v_mov_b32_e32 v19, v0
	v_lshl_add_u64 v[20:21], v[4:5], 0, s[30:31]
	v_lshl_add_u64 v[22:23], s[36:37], 0, v[2:3]
	s_mov_b64 s[36:37], 0x8000
	v_mov_b64_e32 v[24:25], 0x2001
	s_branch .LBB67_14
.LBB67_13:                              ;   in Loop: Header=BB67_14 Depth=1
	s_andn2_b64 vcc, exec, s[30:31]
	s_cbranch_vccz .LBB67_98
.LBB67_14:                              ; =>This Inner Loop Header: Depth=1
	v_mov_b64_e32 v[2:3], 0x1fff
	v_cmp_gt_i64_e32 vcc, s[34:35], v[2:3]
	s_mov_b64 s[38:39], -1
	v_cmp_gt_u32_e64 s[30:31], s34, v30
	s_cbranch_vccnz .LBB67_33
; %bb.15:                               ;   in Loop: Header=BB67_14 Depth=1
	v_mov_b32_e32 v2, v0
	v_mov_b32_e32 v3, v0
	;; [unrolled: 1-line block ×15, first 2 shown]
	v_mov_b64_e32 v[16:17], v[14:15]
	s_waitcnt lgkmcnt(0)
	v_lshl_add_u64 v[26:27], v[22:23], 0, v[18:19]
	v_mov_b64_e32 v[14:15], v[12:13]
	v_mov_b64_e32 v[12:13], v[10:11]
	;; [unrolled: 1-line block ×7, first 2 shown]
	s_and_saveexec_b64 s[38:39], s[30:31]
	s_cbranch_execnz .LBB67_83
; %bb.16:                               ;   in Loop: Header=BB67_14 Depth=1
	s_or_b64 exec, exec, s[38:39]
	v_cmp_gt_u32_e32 vcc, s34, v31
	s_and_saveexec_b64 s[30:31], vcc
	s_cbranch_execnz .LBB67_84
.LBB67_17:                              ;   in Loop: Header=BB67_14 Depth=1
	s_or_b64 exec, exec, s[30:31]
	v_cmp_gt_u32_e32 vcc, s34, v32
	s_and_saveexec_b64 s[30:31], vcc
	s_cbranch_execnz .LBB67_85
.LBB67_18:                              ;   in Loop: Header=BB67_14 Depth=1
	s_or_b64 exec, exec, s[30:31]
	v_cmp_gt_u32_e32 vcc, s34, v33
	s_and_saveexec_b64 s[30:31], vcc
	s_cbranch_execnz .LBB67_86
.LBB67_19:                              ;   in Loop: Header=BB67_14 Depth=1
	s_or_b64 exec, exec, s[30:31]
	v_cmp_gt_u32_e32 vcc, s34, v34
	s_and_saveexec_b64 s[30:31], vcc
	s_cbranch_execnz .LBB67_87
.LBB67_20:                              ;   in Loop: Header=BB67_14 Depth=1
	s_or_b64 exec, exec, s[30:31]
	v_cmp_gt_u32_e32 vcc, s34, v35
	s_and_saveexec_b64 s[30:31], vcc
	s_cbranch_execnz .LBB67_88
.LBB67_21:                              ;   in Loop: Header=BB67_14 Depth=1
	s_or_b64 exec, exec, s[30:31]
	v_cmp_gt_u32_e32 vcc, s34, v36
	s_and_saveexec_b64 s[30:31], vcc
	s_cbranch_execnz .LBB67_89
.LBB67_22:                              ;   in Loop: Header=BB67_14 Depth=1
	s_or_b64 exec, exec, s[30:31]
	v_cmp_gt_u32_e32 vcc, s34, v37
	s_and_saveexec_b64 s[30:31], vcc
	s_cbranch_execnz .LBB67_90
.LBB67_23:                              ;   in Loop: Header=BB67_14 Depth=1
	s_or_b64 exec, exec, s[30:31]
	v_cmp_gt_u32_e32 vcc, s34, v38
	s_and_saveexec_b64 s[30:31], vcc
	s_cbranch_execnz .LBB67_91
.LBB67_24:                              ;   in Loop: Header=BB67_14 Depth=1
	s_or_b64 exec, exec, s[30:31]
	v_cmp_gt_u32_e32 vcc, s34, v39
	s_and_saveexec_b64 s[30:31], vcc
	s_cbranch_execnz .LBB67_92
.LBB67_25:                              ;   in Loop: Header=BB67_14 Depth=1
	s_or_b64 exec, exec, s[30:31]
	v_cmp_gt_u32_e32 vcc, s34, v40
	s_and_saveexec_b64 s[30:31], vcc
	s_cbranch_execnz .LBB67_93
.LBB67_26:                              ;   in Loop: Header=BB67_14 Depth=1
	s_or_b64 exec, exec, s[30:31]
	v_cmp_gt_u32_e32 vcc, s34, v41
	s_and_saveexec_b64 s[30:31], vcc
	s_cbranch_execnz .LBB67_94
.LBB67_27:                              ;   in Loop: Header=BB67_14 Depth=1
	s_or_b64 exec, exec, s[30:31]
	v_cmp_gt_u32_e32 vcc, s34, v42
	s_and_saveexec_b64 s[30:31], vcc
	s_cbranch_execnz .LBB67_95
.LBB67_28:                              ;   in Loop: Header=BB67_14 Depth=1
	s_or_b64 exec, exec, s[30:31]
	v_cmp_gt_u32_e32 vcc, s34, v43
	s_and_saveexec_b64 s[30:31], vcc
	s_cbranch_execnz .LBB67_96
.LBB67_29:                              ;   in Loop: Header=BB67_14 Depth=1
	s_or_b64 exec, exec, s[30:31]
	v_cmp_gt_u32_e32 vcc, s34, v44
	s_and_saveexec_b64 s[30:31], vcc
	s_cbranch_execnz .LBB67_97
.LBB67_30:                              ;   in Loop: Header=BB67_14 Depth=1
	s_or_b64 exec, exec, s[30:31]
	v_cmp_gt_u32_e32 vcc, s34, v45
	s_and_saveexec_b64 s[30:31], vcc
	s_cbranch_execz .LBB67_32
.LBB67_31:                              ;   in Loop: Header=BB67_14 Depth=1
	global_load_dword v17, v[26:27], off offset:3840
.LBB67_32:                              ;   in Loop: Header=BB67_14 Depth=1
	s_or_b64 exec, exec, s[30:31]
	s_mov_b64 s[38:39], 0
	s_waitcnt vmcnt(0)
	ds_write_b32 v46, v2
	ds_write_b32 v47, v3 offset:256
	ds_write_b32 v48, v4 offset:512
	;; [unrolled: 1-line block ×15, first 2 shown]
	; wave barrier
.LBB67_33:                              ;   in Loop: Header=BB67_14 Depth=1
	s_and_b64 vcc, exec, s[38:39]
	s_cbranch_vccz .LBB67_35
; %bb.34:                               ;   in Loop: Header=BB67_14 Depth=1
	v_lshl_add_u64 v[2:3], v[22:23], 0, v[18:19]
	global_load_dword v1, v[2:3], off
	global_load_dword v4, v[2:3], off offset:256
	global_load_dword v5, v[2:3], off offset:512
	;; [unrolled: 1-line block ×14, first 2 shown]
	s_nop 0
	global_load_dword v2, v[2:3], off offset:3840
	s_waitcnt vmcnt(15)
	ds_write_b32 v46, v1
	s_waitcnt vmcnt(14)
	ds_write_b32 v47, v4 offset:256
	s_waitcnt vmcnt(13)
	ds_write_b32 v48, v5 offset:512
	;; [unrolled: 2-line block ×15, first 2 shown]
	; wave barrier
.LBB67_35:                              ;   in Loop: Header=BB67_14 Depth=1
	ds_read2_b32 v[16:17], v62 offset1:1
	ds_read2_b32 v[14:15], v62 offset0:2 offset1:3
	ds_read2_b32 v[12:13], v62 offset0:4 offset1:5
	;; [unrolled: 1-line block ×7, first 2 shown]
	s_waitcnt lgkmcnt(7)
	v_add_f32_e32 v1, v16, v17
	s_waitcnt lgkmcnt(6)
	v_add_f32_e32 v1, v14, v1
	v_add_f32_e32 v1, v15, v1
	s_waitcnt lgkmcnt(5)
	v_add_f32_e32 v1, v12, v1
	;; [unrolled: 3-line block ×7, first 2 shown]
	v_add_f32_e32 v1, v3, v1
	s_barrier
	s_nop 0
	v_mov_b32_dpp v26, v1 row_shr:1 row_mask:0xf bank_mask:0xf
	v_add_f32_e32 v26, v1, v26
	v_cndmask_b32_e64 v1, v26, v1, s[6:7]
	s_nop 1
	v_mov_b32_dpp v26, v1 row_shr:2 row_mask:0xf bank_mask:0xf
	v_add_f32_e32 v26, v1, v26
	v_cndmask_b32_e64 v1, v1, v26, s[8:9]
	;; [unrolled: 4-line block ×4, first 2 shown]
	s_nop 1
	v_mov_b32_dpp v26, v1 row_bcast:15 row_mask:0xf bank_mask:0xf
	v_add_f32_e32 v26, v1, v26
	v_cndmask_b32_e64 v1, v26, v1, s[14:15]
	s_nop 1
	v_mov_b32_dpp v26, v1 row_bcast:31 row_mask:0xf bank_mask:0xf
	v_add_f32_e32 v26, v1, v26
	v_cndmask_b32_e64 v1, v1, v26, s[16:17]
	s_and_saveexec_b64 s[30:31], s[18:19]
; %bb.36:                               ;   in Loop: Header=BB67_14 Depth=1
	ds_write_b32 v63, v1
; %bb.37:                               ;   in Loop: Header=BB67_14 Depth=1
	s_or_b64 exec, exec, s[30:31]
	s_waitcnt lgkmcnt(0)
	s_barrier
	s_and_saveexec_b64 s[30:31], s[20:21]
	s_cbranch_execz .LBB67_39
; %bb.38:                               ;   in Loop: Header=BB67_14 Depth=1
	ds_read_b32 v26, v28
	s_waitcnt lgkmcnt(0)
	s_nop 0
	v_mov_b32_dpp v27, v26 row_shr:1 row_mask:0xf bank_mask:0xf
	v_add_f32_e32 v27, v26, v27
	v_cndmask_b32_e64 v26, v27, v26, s[22:23]
	s_nop 1
	v_mov_b32_dpp v27, v26 row_shr:2 row_mask:0xf bank_mask:0xf
	v_add_f32_e32 v27, v26, v27
	v_cndmask_b32_e64 v26, v26, v27, s[24:25]
	;; [unrolled: 4-line block ×3, first 2 shown]
	ds_write_b32 v28, v26
.LBB67_39:                              ;   in Loop: Header=BB67_14 Depth=1
	s_or_b64 exec, exec, s[30:31]
	s_waitcnt lgkmcnt(0)
	s_barrier
                                        ; implicit-def: $vgpr26
	s_and_saveexec_b64 s[30:31], s[2:3]
	s_cbranch_execz .LBB67_41
; %bb.40:                               ;   in Loop: Header=BB67_14 Depth=1
	v_add_u32_e32 v26, -4, v63
	ds_read_b32 v26, v26
	s_waitcnt lgkmcnt(0)
	v_add_f32_e32 v1, v1, v26
.LBB67_41:                              ;   in Loop: Header=BB67_14 Depth=1
	s_or_b64 exec, exec, s[30:31]
	ds_bpermute_b32 v1, v64, v1
	s_and_saveexec_b64 s[30:31], s[4:5]
	s_cbranch_execz .LBB67_45
; %bb.42:                               ;   in Loop: Header=BB67_14 Depth=1
	ds_read_b32 v27, v0 offset:28
	s_and_saveexec_b64 s[38:39], s[28:29]
; %bb.43:                               ;   in Loop: Header=BB67_14 Depth=1
	ds_write_b32 v0, v29 offset:28
; %bb.44:                               ;   in Loop: Header=BB67_14 Depth=1
	s_or_b64 exec, exec, s[38:39]
	s_waitcnt lgkmcnt(0)
	v_add_f32_e32 v29, v29, v27
.LBB67_45:                              ;   in Loop: Header=BB67_14 Depth=1
	s_or_b64 exec, exec, s[30:31]
	s_waitcnt lgkmcnt(0)
	s_barrier
	ds_read_b32 v27, v0 offset:28
	v_cndmask_b32_e64 v1, v1, v26, s[0:1]
	v_add_f32_e32 v1, v16, v1
	v_cndmask_b32_e64 v1, v1, v16, s[28:29]
	v_mov_b64_e32 v[66:67], 0x2000
	s_waitcnt lgkmcnt(0)
	v_add_f32_e32 v1, v1, v27
	v_add_f32_e32 v16, v17, v1
	;; [unrolled: 1-line block ×14, first 2 shown]
	v_cmp_lt_i64_e32 vcc, s[34:35], v[66:67]
	v_add_f32_e32 v17, v2, v5
	v_add_f32_e32 v26, v3, v17
	v_lshl_add_u64 v[2:3], v[20:21], 0, v[18:19]
	s_barrier
	s_cbranch_vccz .LBB67_68
; %bb.46:                               ;   in Loop: Header=BB67_14 Depth=1
	ds_write2_b32 v62, v1, v16 offset1:1
	ds_write2_b32 v62, v14, v15 offset0:2 offset1:3
	ds_write2_b32 v62, v12, v13 offset0:4 offset1:5
	ds_write2_b32 v62, v10, v11 offset0:6 offset1:7
	ds_write2_b32 v62, v8, v9 offset0:8 offset1:9
	ds_write2_b32 v62, v6, v7 offset0:10 offset1:11
	ds_write2_b32 v62, v4, v5 offset0:12 offset1:13
	ds_write2_b32 v62, v17, v26 offset0:14 offset1:15
	; wave barrier
	ds_read_b32 v79, v46
	ds_read_b32 v78, v47 offset:256
	ds_read_b32 v77, v48 offset:512
	;; [unrolled: 1-line block ×15, first 2 shown]
	v_cmp_gt_u32_e32 vcc, s34, v30
	s_and_saveexec_b64 s[30:31], vcc
	s_cbranch_execnz .LBB67_69
; %bb.47:                               ;   in Loop: Header=BB67_14 Depth=1
	s_or_b64 exec, exec, s[30:31]
	v_cmp_gt_u32_e32 vcc, s34, v31
	s_and_saveexec_b64 s[30:31], vcc
	s_cbranch_execnz .LBB67_70
.LBB67_48:                              ;   in Loop: Header=BB67_14 Depth=1
	s_or_b64 exec, exec, s[30:31]
	v_cmp_gt_u32_e32 vcc, s34, v32
	s_and_saveexec_b64 s[30:31], vcc
	s_cbranch_execnz .LBB67_71
.LBB67_49:                              ;   in Loop: Header=BB67_14 Depth=1
	s_or_b64 exec, exec, s[30:31]
	v_cmp_gt_u32_e32 vcc, s34, v33
	s_and_saveexec_b64 s[30:31], vcc
	s_cbranch_execnz .LBB67_72
.LBB67_50:                              ;   in Loop: Header=BB67_14 Depth=1
	s_or_b64 exec, exec, s[30:31]
	v_cmp_gt_u32_e32 vcc, s34, v34
	s_and_saveexec_b64 s[30:31], vcc
	s_cbranch_execnz .LBB67_73
.LBB67_51:                              ;   in Loop: Header=BB67_14 Depth=1
	s_or_b64 exec, exec, s[30:31]
	v_cmp_gt_u32_e32 vcc, s34, v35
	s_and_saveexec_b64 s[30:31], vcc
	s_cbranch_execnz .LBB67_74
.LBB67_52:                              ;   in Loop: Header=BB67_14 Depth=1
	s_or_b64 exec, exec, s[30:31]
	v_cmp_gt_u32_e32 vcc, s34, v36
	s_and_saveexec_b64 s[30:31], vcc
	s_cbranch_execnz .LBB67_75
.LBB67_53:                              ;   in Loop: Header=BB67_14 Depth=1
	s_or_b64 exec, exec, s[30:31]
	v_cmp_gt_u32_e32 vcc, s34, v37
	s_and_saveexec_b64 s[30:31], vcc
	s_cbranch_execnz .LBB67_76
.LBB67_54:                              ;   in Loop: Header=BB67_14 Depth=1
	s_or_b64 exec, exec, s[30:31]
	v_cmp_gt_u32_e32 vcc, s34, v38
	s_and_saveexec_b64 s[30:31], vcc
	s_cbranch_execnz .LBB67_77
.LBB67_55:                              ;   in Loop: Header=BB67_14 Depth=1
	s_or_b64 exec, exec, s[30:31]
	v_cmp_gt_u32_e32 vcc, s34, v39
	s_and_saveexec_b64 s[30:31], vcc
	s_cbranch_execnz .LBB67_78
.LBB67_56:                              ;   in Loop: Header=BB67_14 Depth=1
	s_or_b64 exec, exec, s[30:31]
	v_cmp_gt_u32_e32 vcc, s34, v40
	s_and_saveexec_b64 s[30:31], vcc
	s_cbranch_execnz .LBB67_79
.LBB67_57:                              ;   in Loop: Header=BB67_14 Depth=1
	s_or_b64 exec, exec, s[30:31]
	v_cmp_gt_u32_e32 vcc, s34, v41
	s_and_saveexec_b64 s[30:31], vcc
	s_cbranch_execnz .LBB67_80
.LBB67_58:                              ;   in Loop: Header=BB67_14 Depth=1
	s_or_b64 exec, exec, s[30:31]
	v_cmp_gt_u32_e32 vcc, s34, v42
	s_and_saveexec_b64 s[30:31], vcc
	s_cbranch_execnz .LBB67_81
.LBB67_59:                              ;   in Loop: Header=BB67_14 Depth=1
	s_or_b64 exec, exec, s[30:31]
	v_cmp_gt_u32_e32 vcc, s34, v43
	s_and_saveexec_b64 s[30:31], vcc
	s_cbranch_execnz .LBB67_82
.LBB67_60:                              ;   in Loop: Header=BB67_14 Depth=1
	s_or_b64 exec, exec, s[30:31]
	v_cmp_gt_u32_e32 vcc, s34, v44
	s_and_saveexec_b64 s[30:31], vcc
	s_cbranch_execz .LBB67_62
.LBB67_61:                              ;   in Loop: Header=BB67_14 Depth=1
	s_waitcnt lgkmcnt(1)
	global_store_dword v[2:3], v65, off offset:-256
.LBB67_62:                              ;   in Loop: Header=BB67_14 Depth=1
	s_or_b64 exec, exec, s[30:31]
	v_cmp_gt_u32_e64 s[30:31], s34, v45
	s_branch .LBB67_64
.LBB67_63:                              ;   in Loop: Header=BB67_14 Depth=1
	ds_write2_b32 v62, v1, v16 offset1:1
	ds_write2_b32 v62, v14, v15 offset0:2 offset1:3
	ds_write2_b32 v62, v12, v13 offset0:4 offset1:5
	;; [unrolled: 1-line block ×7, first 2 shown]
	; wave barrier
	ds_read_b32 v1, v46
	ds_read_b32 v4, v47 offset:256
	ds_read_b32 v5, v48 offset:512
	;; [unrolled: 1-line block ×14, first 2 shown]
	s_waitcnt lgkmcnt(14)
	ds_read_b32 v27, v61 offset:3840
	s_or_b64 s[30:31], s[30:31], exec
	global_store_dword v[2:3], v1, off offset:-3840
	s_waitcnt lgkmcnt(14)
	global_store_dword v[2:3], v4, off offset:-3584
	s_waitcnt lgkmcnt(13)
	global_store_dword v[2:3], v5, off offset:-3328
	s_waitcnt lgkmcnt(12)
	global_store_dword v[2:3], v6, off offset:-3072
	s_waitcnt lgkmcnt(11)
	global_store_dword v[2:3], v7, off offset:-2816
	s_waitcnt lgkmcnt(10)
	global_store_dword v[2:3], v8, off offset:-2560
	s_waitcnt lgkmcnt(9)
	global_store_dword v[2:3], v9, off offset:-2304
	s_waitcnt lgkmcnt(8)
	global_store_dword v[2:3], v10, off offset:-2048
	s_waitcnt lgkmcnt(7)
	global_store_dword v[2:3], v11, off offset:-1792
	s_waitcnt lgkmcnt(6)
	global_store_dword v[2:3], v12, off offset:-1536
	s_waitcnt lgkmcnt(5)
	global_store_dword v[2:3], v13, off offset:-1280
	s_waitcnt lgkmcnt(4)
	global_store_dword v[2:3], v14, off offset:-1024
	s_waitcnt lgkmcnt(3)
	global_store_dword v[2:3], v15, off offset:-768
	s_waitcnt lgkmcnt(2)
	global_store_dword v[2:3], v16, off offset:-512
	s_waitcnt lgkmcnt(1)
	global_store_dword v[2:3], v17, off offset:-256
.LBB67_64:                              ;   in Loop: Header=BB67_14 Depth=1
	s_and_saveexec_b64 s[38:39], s[30:31]
	s_cbranch_execz .LBB67_66
; %bb.65:                               ;   in Loop: Header=BB67_14 Depth=1
	s_waitcnt lgkmcnt(0)
	global_store_dword v[2:3], v27, off
.LBB67_66:                              ;   in Loop: Header=BB67_14 Depth=1
	s_or_b64 exec, exec, s[38:39]
	v_cmp_lt_i64_e32 vcc, s[34:35], v[24:25]
	s_mov_b64 s[30:31], -1
	s_cbranch_vccnz .LBB67_13
; %bb.67:                               ;   in Loop: Header=BB67_14 Depth=1
	s_add_u32 s34, s34, 0xffffe000
	s_addc_u32 s35, s35, -1
	s_add_i32 s33, s33, -1
	s_cmp_eq_u32 s33, 0
	v_lshl_add_u64 v[20:21], v[20:21], 0, s[36:37]
	v_lshl_add_u64 v[22:23], v[22:23], 0, s[36:37]
	s_cselect_b64 s[30:31], -1, 0
	s_waitcnt lgkmcnt(0)
	s_barrier
	s_branch .LBB67_13
.LBB67_68:                              ;   in Loop: Header=BB67_14 Depth=1
	s_mov_b64 s[30:31], 0
                                        ; implicit-def: $vgpr27
	s_cbranch_execnz .LBB67_63
	s_branch .LBB67_64
.LBB67_69:                              ;   in Loop: Header=BB67_14 Depth=1
	s_waitcnt lgkmcnt(14)
	global_store_dword v[2:3], v79, off offset:-3840
	s_or_b64 exec, exec, s[30:31]
	v_cmp_gt_u32_e32 vcc, s34, v31
	s_and_saveexec_b64 s[30:31], vcc
	s_cbranch_execz .LBB67_48
.LBB67_70:                              ;   in Loop: Header=BB67_14 Depth=1
	s_waitcnt lgkmcnt(14)
	global_store_dword v[2:3], v78, off offset:-3584
	s_or_b64 exec, exec, s[30:31]
	v_cmp_gt_u32_e32 vcc, s34, v32
	s_and_saveexec_b64 s[30:31], vcc
	s_cbranch_execz .LBB67_49
.LBB67_71:                              ;   in Loop: Header=BB67_14 Depth=1
	s_waitcnt lgkmcnt(13)
	global_store_dword v[2:3], v77, off offset:-3328
	s_or_b64 exec, exec, s[30:31]
	v_cmp_gt_u32_e32 vcc, s34, v33
	s_and_saveexec_b64 s[30:31], vcc
	s_cbranch_execz .LBB67_50
.LBB67_72:                              ;   in Loop: Header=BB67_14 Depth=1
	s_waitcnt lgkmcnt(12)
	global_store_dword v[2:3], v76, off offset:-3072
	s_or_b64 exec, exec, s[30:31]
	v_cmp_gt_u32_e32 vcc, s34, v34
	s_and_saveexec_b64 s[30:31], vcc
	s_cbranch_execz .LBB67_51
.LBB67_73:                              ;   in Loop: Header=BB67_14 Depth=1
	s_waitcnt lgkmcnt(11)
	global_store_dword v[2:3], v75, off offset:-2816
	s_or_b64 exec, exec, s[30:31]
	v_cmp_gt_u32_e32 vcc, s34, v35
	s_and_saveexec_b64 s[30:31], vcc
	s_cbranch_execz .LBB67_52
.LBB67_74:                              ;   in Loop: Header=BB67_14 Depth=1
	s_waitcnt lgkmcnt(10)
	global_store_dword v[2:3], v74, off offset:-2560
	s_or_b64 exec, exec, s[30:31]
	v_cmp_gt_u32_e32 vcc, s34, v36
	s_and_saveexec_b64 s[30:31], vcc
	s_cbranch_execz .LBB67_53
.LBB67_75:                              ;   in Loop: Header=BB67_14 Depth=1
	s_waitcnt lgkmcnt(9)
	global_store_dword v[2:3], v73, off offset:-2304
	s_or_b64 exec, exec, s[30:31]
	v_cmp_gt_u32_e32 vcc, s34, v37
	s_and_saveexec_b64 s[30:31], vcc
	s_cbranch_execz .LBB67_54
.LBB67_76:                              ;   in Loop: Header=BB67_14 Depth=1
	s_waitcnt lgkmcnt(8)
	global_store_dword v[2:3], v72, off offset:-2048
	s_or_b64 exec, exec, s[30:31]
	v_cmp_gt_u32_e32 vcc, s34, v38
	s_and_saveexec_b64 s[30:31], vcc
	s_cbranch_execz .LBB67_55
.LBB67_77:                              ;   in Loop: Header=BB67_14 Depth=1
	s_waitcnt lgkmcnt(7)
	global_store_dword v[2:3], v71, off offset:-1792
	s_or_b64 exec, exec, s[30:31]
	v_cmp_gt_u32_e32 vcc, s34, v39
	s_and_saveexec_b64 s[30:31], vcc
	s_cbranch_execz .LBB67_56
.LBB67_78:                              ;   in Loop: Header=BB67_14 Depth=1
	s_waitcnt lgkmcnt(6)
	global_store_dword v[2:3], v70, off offset:-1536
	s_or_b64 exec, exec, s[30:31]
	v_cmp_gt_u32_e32 vcc, s34, v40
	s_and_saveexec_b64 s[30:31], vcc
	s_cbranch_execz .LBB67_57
.LBB67_79:                              ;   in Loop: Header=BB67_14 Depth=1
	s_waitcnt lgkmcnt(5)
	global_store_dword v[2:3], v69, off offset:-1280
	s_or_b64 exec, exec, s[30:31]
	v_cmp_gt_u32_e32 vcc, s34, v41
	s_and_saveexec_b64 s[30:31], vcc
	s_cbranch_execz .LBB67_58
.LBB67_80:                              ;   in Loop: Header=BB67_14 Depth=1
	s_waitcnt lgkmcnt(4)
	global_store_dword v[2:3], v68, off offset:-1024
	s_or_b64 exec, exec, s[30:31]
	v_cmp_gt_u32_e32 vcc, s34, v42
	s_and_saveexec_b64 s[30:31], vcc
	s_cbranch_execz .LBB67_59
.LBB67_81:                              ;   in Loop: Header=BB67_14 Depth=1
	s_waitcnt lgkmcnt(3)
	global_store_dword v[2:3], v67, off offset:-768
	s_or_b64 exec, exec, s[30:31]
	v_cmp_gt_u32_e32 vcc, s34, v43
	s_and_saveexec_b64 s[30:31], vcc
	s_cbranch_execz .LBB67_60
.LBB67_82:                              ;   in Loop: Header=BB67_14 Depth=1
	s_waitcnt lgkmcnt(2)
	global_store_dword v[2:3], v66, off offset:-512
	s_or_b64 exec, exec, s[30:31]
	v_cmp_gt_u32_e32 vcc, s34, v44
	s_and_saveexec_b64 s[30:31], vcc
	s_cbranch_execnz .LBB67_61
	s_branch .LBB67_62
.LBB67_83:                              ;   in Loop: Header=BB67_14 Depth=1
	global_load_dword v2, v[26:27], off
	v_mov_b32_e32 v3, v0
	v_mov_b32_e32 v4, v0
	;; [unrolled: 1-line block ×15, first 2 shown]
	s_or_b64 exec, exec, s[38:39]
	v_cmp_gt_u32_e32 vcc, s34, v31
	s_and_saveexec_b64 s[30:31], vcc
	s_cbranch_execz .LBB67_17
.LBB67_84:                              ;   in Loop: Header=BB67_14 Depth=1
	global_load_dword v3, v[26:27], off offset:256
	s_or_b64 exec, exec, s[30:31]
	v_cmp_gt_u32_e32 vcc, s34, v32
	s_and_saveexec_b64 s[30:31], vcc
	s_cbranch_execz .LBB67_18
.LBB67_85:                              ;   in Loop: Header=BB67_14 Depth=1
	global_load_dword v4, v[26:27], off offset:512
	s_or_b64 exec, exec, s[30:31]
	v_cmp_gt_u32_e32 vcc, s34, v33
	s_and_saveexec_b64 s[30:31], vcc
	s_cbranch_execz .LBB67_19
.LBB67_86:                              ;   in Loop: Header=BB67_14 Depth=1
	global_load_dword v5, v[26:27], off offset:768
	s_or_b64 exec, exec, s[30:31]
	v_cmp_gt_u32_e32 vcc, s34, v34
	s_and_saveexec_b64 s[30:31], vcc
	s_cbranch_execz .LBB67_20
.LBB67_87:                              ;   in Loop: Header=BB67_14 Depth=1
	global_load_dword v6, v[26:27], off offset:1024
	s_or_b64 exec, exec, s[30:31]
	v_cmp_gt_u32_e32 vcc, s34, v35
	s_and_saveexec_b64 s[30:31], vcc
	s_cbranch_execz .LBB67_21
.LBB67_88:                              ;   in Loop: Header=BB67_14 Depth=1
	global_load_dword v7, v[26:27], off offset:1280
	s_or_b64 exec, exec, s[30:31]
	v_cmp_gt_u32_e32 vcc, s34, v36
	s_and_saveexec_b64 s[30:31], vcc
	s_cbranch_execz .LBB67_22
.LBB67_89:                              ;   in Loop: Header=BB67_14 Depth=1
	global_load_dword v8, v[26:27], off offset:1536
	s_or_b64 exec, exec, s[30:31]
	v_cmp_gt_u32_e32 vcc, s34, v37
	s_and_saveexec_b64 s[30:31], vcc
	s_cbranch_execz .LBB67_23
.LBB67_90:                              ;   in Loop: Header=BB67_14 Depth=1
	global_load_dword v9, v[26:27], off offset:1792
	s_or_b64 exec, exec, s[30:31]
	v_cmp_gt_u32_e32 vcc, s34, v38
	s_and_saveexec_b64 s[30:31], vcc
	s_cbranch_execz .LBB67_24
.LBB67_91:                              ;   in Loop: Header=BB67_14 Depth=1
	global_load_dword v10, v[26:27], off offset:2048
	s_or_b64 exec, exec, s[30:31]
	v_cmp_gt_u32_e32 vcc, s34, v39
	s_and_saveexec_b64 s[30:31], vcc
	s_cbranch_execz .LBB67_25
.LBB67_92:                              ;   in Loop: Header=BB67_14 Depth=1
	global_load_dword v11, v[26:27], off offset:2304
	s_or_b64 exec, exec, s[30:31]
	v_cmp_gt_u32_e32 vcc, s34, v40
	s_and_saveexec_b64 s[30:31], vcc
	s_cbranch_execz .LBB67_26
.LBB67_93:                              ;   in Loop: Header=BB67_14 Depth=1
	global_load_dword v12, v[26:27], off offset:2560
	s_or_b64 exec, exec, s[30:31]
	v_cmp_gt_u32_e32 vcc, s34, v41
	s_and_saveexec_b64 s[30:31], vcc
	s_cbranch_execz .LBB67_27
.LBB67_94:                              ;   in Loop: Header=BB67_14 Depth=1
	global_load_dword v13, v[26:27], off offset:2816
	s_or_b64 exec, exec, s[30:31]
	v_cmp_gt_u32_e32 vcc, s34, v42
	s_and_saveexec_b64 s[30:31], vcc
	s_cbranch_execz .LBB67_28
.LBB67_95:                              ;   in Loop: Header=BB67_14 Depth=1
	global_load_dword v14, v[26:27], off offset:3072
	s_or_b64 exec, exec, s[30:31]
	v_cmp_gt_u32_e32 vcc, s34, v43
	s_and_saveexec_b64 s[30:31], vcc
	s_cbranch_execz .LBB67_29
.LBB67_96:                              ;   in Loop: Header=BB67_14 Depth=1
	global_load_dword v15, v[26:27], off offset:3328
	s_or_b64 exec, exec, s[30:31]
	v_cmp_gt_u32_e32 vcc, s34, v44
	s_and_saveexec_b64 s[30:31], vcc
	s_cbranch_execz .LBB67_30
.LBB67_97:                              ;   in Loop: Header=BB67_14 Depth=1
	global_load_dword v16, v[26:27], off offset:3584
	s_or_b64 exec, exec, s[30:31]
	v_cmp_gt_u32_e32 vcc, s34, v45
	s_and_saveexec_b64 s[30:31], vcc
	s_cbranch_execnz .LBB67_31
	s_branch .LBB67_32
.LBB67_98:
	s_endpgm
	.section	.rodata,"a",@progbits
	.p2align	6, 0x0
	.amdhsa_kernel _ZN2at4cuda3cub17final_scan_kernelILi512ELi16EfEEvPKT1_PS3_S6_li
		.amdhsa_group_segment_fixed_size 33792
		.amdhsa_private_segment_fixed_size 0
		.amdhsa_kernarg_size 296
		.amdhsa_user_sgpr_count 2
		.amdhsa_user_sgpr_dispatch_ptr 0
		.amdhsa_user_sgpr_queue_ptr 0
		.amdhsa_user_sgpr_kernarg_segment_ptr 1
		.amdhsa_user_sgpr_dispatch_id 0
		.amdhsa_user_sgpr_kernarg_preload_length 0
		.amdhsa_user_sgpr_kernarg_preload_offset 0
		.amdhsa_user_sgpr_private_segment_size 0
		.amdhsa_uses_dynamic_stack 0
		.amdhsa_enable_private_segment 0
		.amdhsa_system_sgpr_workgroup_id_x 1
		.amdhsa_system_sgpr_workgroup_id_y 0
		.amdhsa_system_sgpr_workgroup_id_z 0
		.amdhsa_system_sgpr_workgroup_info 0
		.amdhsa_system_vgpr_workitem_id 0
		.amdhsa_next_free_vgpr 80
		.amdhsa_next_free_sgpr 44
		.amdhsa_accum_offset 80
		.amdhsa_reserve_vcc 1
		.amdhsa_float_round_mode_32 0
		.amdhsa_float_round_mode_16_64 0
		.amdhsa_float_denorm_mode_32 3
		.amdhsa_float_denorm_mode_16_64 3
		.amdhsa_dx10_clamp 1
		.amdhsa_ieee_mode 1
		.amdhsa_fp16_overflow 0
		.amdhsa_tg_split 0
		.amdhsa_exception_fp_ieee_invalid_op 0
		.amdhsa_exception_fp_denorm_src 0
		.amdhsa_exception_fp_ieee_div_zero 0
		.amdhsa_exception_fp_ieee_overflow 0
		.amdhsa_exception_fp_ieee_underflow 0
		.amdhsa_exception_fp_ieee_inexact 0
		.amdhsa_exception_int_div_zero 0
	.end_amdhsa_kernel
	.section	.text._ZN2at4cuda3cub17final_scan_kernelILi512ELi16EfEEvPKT1_PS3_S6_li,"axG",@progbits,_ZN2at4cuda3cub17final_scan_kernelILi512ELi16EfEEvPKT1_PS3_S6_li,comdat
.Lfunc_end67:
	.size	_ZN2at4cuda3cub17final_scan_kernelILi512ELi16EfEEvPKT1_PS3_S6_li, .Lfunc_end67-_ZN2at4cuda3cub17final_scan_kernelILi512ELi16EfEEvPKT1_PS3_S6_li
                                        ; -- End function
	.set _ZN2at4cuda3cub17final_scan_kernelILi512ELi16EfEEvPKT1_PS3_S6_li.num_vgpr, 80
	.set _ZN2at4cuda3cub17final_scan_kernelILi512ELi16EfEEvPKT1_PS3_S6_li.num_agpr, 0
	.set _ZN2at4cuda3cub17final_scan_kernelILi512ELi16EfEEvPKT1_PS3_S6_li.numbered_sgpr, 44
	.set _ZN2at4cuda3cub17final_scan_kernelILi512ELi16EfEEvPKT1_PS3_S6_li.num_named_barrier, 0
	.set _ZN2at4cuda3cub17final_scan_kernelILi512ELi16EfEEvPKT1_PS3_S6_li.private_seg_size, 0
	.set _ZN2at4cuda3cub17final_scan_kernelILi512ELi16EfEEvPKT1_PS3_S6_li.uses_vcc, 1
	.set _ZN2at4cuda3cub17final_scan_kernelILi512ELi16EfEEvPKT1_PS3_S6_li.uses_flat_scratch, 0
	.set _ZN2at4cuda3cub17final_scan_kernelILi512ELi16EfEEvPKT1_PS3_S6_li.has_dyn_sized_stack, 0
	.set _ZN2at4cuda3cub17final_scan_kernelILi512ELi16EfEEvPKT1_PS3_S6_li.has_recursion, 0
	.set _ZN2at4cuda3cub17final_scan_kernelILi512ELi16EfEEvPKT1_PS3_S6_li.has_indirect_call, 0
	.section	.AMDGPU.csdata,"",@progbits
; Kernel info:
; codeLenInByte = 4448
; TotalNumSgprs: 50
; NumVgprs: 80
; NumAgprs: 0
; TotalNumVgprs: 80
; ScratchSize: 0
; MemoryBound: 0
; FloatMode: 240
; IeeeMode: 1
; LDSByteSize: 33792 bytes/workgroup (compile time only)
; SGPRBlocks: 6
; VGPRBlocks: 9
; NumSGPRsForWavesPerEU: 50
; NumVGPRsForWavesPerEU: 80
; AccumOffset: 80
; Occupancy: 6
; WaveLimiterHint : 1
; COMPUTE_PGM_RSRC2:SCRATCH_EN: 0
; COMPUTE_PGM_RSRC2:USER_SGPR: 2
; COMPUTE_PGM_RSRC2:TRAP_HANDLER: 0
; COMPUTE_PGM_RSRC2:TGID_X_EN: 1
; COMPUTE_PGM_RSRC2:TGID_Y_EN: 0
; COMPUTE_PGM_RSRC2:TGID_Z_EN: 0
; COMPUTE_PGM_RSRC2:TIDIG_COMP_CNT: 0
; COMPUTE_PGM_RSRC3_GFX90A:ACCUM_OFFSET: 19
; COMPUTE_PGM_RSRC3_GFX90A:TG_SPLIT: 0
	.section	.text._ZN7rocprim17ROCPRIM_304000_NS6detail31init_lookback_scan_state_kernelINS1_19lookback_scan_stateIfLb1ELb1EEEEEvT_jjPNS5_10value_typeE,"axG",@progbits,_ZN7rocprim17ROCPRIM_304000_NS6detail31init_lookback_scan_state_kernelINS1_19lookback_scan_stateIfLb1ELb1EEEEEvT_jjPNS5_10value_typeE,comdat
	.protected	_ZN7rocprim17ROCPRIM_304000_NS6detail31init_lookback_scan_state_kernelINS1_19lookback_scan_stateIfLb1ELb1EEEEEvT_jjPNS5_10value_typeE ; -- Begin function _ZN7rocprim17ROCPRIM_304000_NS6detail31init_lookback_scan_state_kernelINS1_19lookback_scan_stateIfLb1ELb1EEEEEvT_jjPNS5_10value_typeE
	.globl	_ZN7rocprim17ROCPRIM_304000_NS6detail31init_lookback_scan_state_kernelINS1_19lookback_scan_stateIfLb1ELb1EEEEEvT_jjPNS5_10value_typeE
	.p2align	8
	.type	_ZN7rocprim17ROCPRIM_304000_NS6detail31init_lookback_scan_state_kernelINS1_19lookback_scan_stateIfLb1ELb1EEEEEvT_jjPNS5_10value_typeE,@function
_ZN7rocprim17ROCPRIM_304000_NS6detail31init_lookback_scan_state_kernelINS1_19lookback_scan_stateIfLb1ELb1EEEEEvT_jjPNS5_10value_typeE: ; @_ZN7rocprim17ROCPRIM_304000_NS6detail31init_lookback_scan_state_kernelINS1_19lookback_scan_stateIfLb1ELb1EEEEEvT_jjPNS5_10value_typeE
; %bb.0:
	s_load_dword s3, s[0:1], 0x24
	s_load_dwordx2 s[8:9], s[0:1], 0x10
	s_load_dwordx4 s[4:7], s[0:1], 0x0
	s_waitcnt lgkmcnt(0)
	s_and_b32 s0, s3, 0xffff
	s_mul_i32 s2, s2, s0
	s_cmp_eq_u64 s[8:9], 0
	v_add_u32_e32 v0, s2, v0
	s_cbranch_scc1 .LBB68_9
; %bb.1:
	s_cmp_lt_u32 s7, s6
	s_cselect_b32 s0, s7, 0
	s_mov_b32 s3, 0
	v_cmp_eq_u32_e32 vcc, s0, v0
	s_and_saveexec_b64 s[0:1], vcc
	s_cbranch_execz .LBB68_8
; %bb.2:
	s_add_i32 s2, s7, 64
	s_lshl_b64 s[2:3], s[2:3], 3
	s_add_u32 s2, s4, s2
	s_addc_u32 s3, s5, s3
	v_mov_b32_e32 v2, 0
	global_load_dwordx2 v[4:5], v2, s[2:3] sc1
	s_waitcnt vmcnt(0)
	v_and_b32_e32 v3, 0xff, v5
	v_cmp_ne_u64_e32 vcc, 0, v[2:3]
	s_cbranch_vccnz .LBB68_7
; %bb.3:
	s_mov_b32 s7, 1
.LBB68_4:                               ; =>This Loop Header: Depth=1
                                        ;     Child Loop BB68_5 Depth 2
	s_mov_b32 s10, s7
.LBB68_5:                               ;   Parent Loop BB68_4 Depth=1
                                        ; =>  This Inner Loop Header: Depth=2
	s_add_i32 s10, s10, -1
	s_cmp_eq_u32 s10, 0
	s_sleep 1
	s_cbranch_scc0 .LBB68_5
; %bb.6:                                ;   in Loop: Header=BB68_4 Depth=1
	global_load_dwordx2 v[4:5], v2, s[2:3] sc1
	s_cmp_lt_u32 s7, 32
	s_cselect_b64 s[10:11], -1, 0
	s_cmp_lg_u64 s[10:11], 0
	s_addc_u32 s7, s7, 0
	s_waitcnt vmcnt(0)
	v_and_b32_e32 v3, 0xff, v5
	v_cmp_ne_u64_e32 vcc, 0, v[2:3]
	s_cbranch_vccz .LBB68_4
.LBB68_7:
	v_mov_b32_e32 v1, 0
	global_store_dword v1, v4, s[8:9]
.LBB68_8:
	s_or_b64 exec, exec, s[0:1]
.LBB68_9:
	v_cmp_gt_u32_e32 vcc, s6, v0
	s_and_saveexec_b64 s[0:1], vcc
	s_cbranch_execnz .LBB68_12
; %bb.10:
	s_or_b64 exec, exec, s[0:1]
	v_cmp_gt_u32_e32 vcc, 64, v0
	s_and_saveexec_b64 s[0:1], vcc
	s_cbranch_execnz .LBB68_13
.LBB68_11:
	s_endpgm
.LBB68_12:
	v_add_u32_e32 v2, 64, v0
	v_mov_b32_e32 v3, 0
	v_lshl_add_u64 v[4:5], v[2:3], 3, s[4:5]
	v_mov_b32_e32 v2, v3
	global_store_dwordx2 v[4:5], v[2:3], off
	s_or_b64 exec, exec, s[0:1]
	v_cmp_gt_u32_e32 vcc, 64, v0
	s_and_saveexec_b64 s[0:1], vcc
	s_cbranch_execz .LBB68_11
.LBB68_13:
	v_mov_b32_e32 v1, 0
	v_lshl_add_u64 v[2:3], v[0:1], 3, s[4:5]
	v_mov_b32_e32 v5, 0xff
	v_mov_b32_e32 v4, v1
	global_store_dwordx2 v[2:3], v[4:5], off
	s_endpgm
	.section	.rodata,"a",@progbits
	.p2align	6, 0x0
	.amdhsa_kernel _ZN7rocprim17ROCPRIM_304000_NS6detail31init_lookback_scan_state_kernelINS1_19lookback_scan_stateIfLb1ELb1EEEEEvT_jjPNS5_10value_typeE
		.amdhsa_group_segment_fixed_size 0
		.amdhsa_private_segment_fixed_size 0
		.amdhsa_kernarg_size 280
		.amdhsa_user_sgpr_count 2
		.amdhsa_user_sgpr_dispatch_ptr 0
		.amdhsa_user_sgpr_queue_ptr 0
		.amdhsa_user_sgpr_kernarg_segment_ptr 1
		.amdhsa_user_sgpr_dispatch_id 0
		.amdhsa_user_sgpr_kernarg_preload_length 0
		.amdhsa_user_sgpr_kernarg_preload_offset 0
		.amdhsa_user_sgpr_private_segment_size 0
		.amdhsa_uses_dynamic_stack 0
		.amdhsa_enable_private_segment 0
		.amdhsa_system_sgpr_workgroup_id_x 1
		.amdhsa_system_sgpr_workgroup_id_y 0
		.amdhsa_system_sgpr_workgroup_id_z 0
		.amdhsa_system_sgpr_workgroup_info 0
		.amdhsa_system_vgpr_workitem_id 0
		.amdhsa_next_free_vgpr 6
		.amdhsa_next_free_sgpr 12
		.amdhsa_accum_offset 8
		.amdhsa_reserve_vcc 1
		.amdhsa_float_round_mode_32 0
		.amdhsa_float_round_mode_16_64 0
		.amdhsa_float_denorm_mode_32 3
		.amdhsa_float_denorm_mode_16_64 3
		.amdhsa_dx10_clamp 1
		.amdhsa_ieee_mode 1
		.amdhsa_fp16_overflow 0
		.amdhsa_tg_split 0
		.amdhsa_exception_fp_ieee_invalid_op 0
		.amdhsa_exception_fp_denorm_src 0
		.amdhsa_exception_fp_ieee_div_zero 0
		.amdhsa_exception_fp_ieee_overflow 0
		.amdhsa_exception_fp_ieee_underflow 0
		.amdhsa_exception_fp_ieee_inexact 0
		.amdhsa_exception_int_div_zero 0
	.end_amdhsa_kernel
	.section	.text._ZN7rocprim17ROCPRIM_304000_NS6detail31init_lookback_scan_state_kernelINS1_19lookback_scan_stateIfLb1ELb1EEEEEvT_jjPNS5_10value_typeE,"axG",@progbits,_ZN7rocprim17ROCPRIM_304000_NS6detail31init_lookback_scan_state_kernelINS1_19lookback_scan_stateIfLb1ELb1EEEEEvT_jjPNS5_10value_typeE,comdat
.Lfunc_end68:
	.size	_ZN7rocprim17ROCPRIM_304000_NS6detail31init_lookback_scan_state_kernelINS1_19lookback_scan_stateIfLb1ELb1EEEEEvT_jjPNS5_10value_typeE, .Lfunc_end68-_ZN7rocprim17ROCPRIM_304000_NS6detail31init_lookback_scan_state_kernelINS1_19lookback_scan_stateIfLb1ELb1EEEEEvT_jjPNS5_10value_typeE
                                        ; -- End function
	.set _ZN7rocprim17ROCPRIM_304000_NS6detail31init_lookback_scan_state_kernelINS1_19lookback_scan_stateIfLb1ELb1EEEEEvT_jjPNS5_10value_typeE.num_vgpr, 6
	.set _ZN7rocprim17ROCPRIM_304000_NS6detail31init_lookback_scan_state_kernelINS1_19lookback_scan_stateIfLb1ELb1EEEEEvT_jjPNS5_10value_typeE.num_agpr, 0
	.set _ZN7rocprim17ROCPRIM_304000_NS6detail31init_lookback_scan_state_kernelINS1_19lookback_scan_stateIfLb1ELb1EEEEEvT_jjPNS5_10value_typeE.numbered_sgpr, 12
	.set _ZN7rocprim17ROCPRIM_304000_NS6detail31init_lookback_scan_state_kernelINS1_19lookback_scan_stateIfLb1ELb1EEEEEvT_jjPNS5_10value_typeE.num_named_barrier, 0
	.set _ZN7rocprim17ROCPRIM_304000_NS6detail31init_lookback_scan_state_kernelINS1_19lookback_scan_stateIfLb1ELb1EEEEEvT_jjPNS5_10value_typeE.private_seg_size, 0
	.set _ZN7rocprim17ROCPRIM_304000_NS6detail31init_lookback_scan_state_kernelINS1_19lookback_scan_stateIfLb1ELb1EEEEEvT_jjPNS5_10value_typeE.uses_vcc, 1
	.set _ZN7rocprim17ROCPRIM_304000_NS6detail31init_lookback_scan_state_kernelINS1_19lookback_scan_stateIfLb1ELb1EEEEEvT_jjPNS5_10value_typeE.uses_flat_scratch, 0
	.set _ZN7rocprim17ROCPRIM_304000_NS6detail31init_lookback_scan_state_kernelINS1_19lookback_scan_stateIfLb1ELb1EEEEEvT_jjPNS5_10value_typeE.has_dyn_sized_stack, 0
	.set _ZN7rocprim17ROCPRIM_304000_NS6detail31init_lookback_scan_state_kernelINS1_19lookback_scan_stateIfLb1ELb1EEEEEvT_jjPNS5_10value_typeE.has_recursion, 0
	.set _ZN7rocprim17ROCPRIM_304000_NS6detail31init_lookback_scan_state_kernelINS1_19lookback_scan_stateIfLb1ELb1EEEEEvT_jjPNS5_10value_typeE.has_indirect_call, 0
	.section	.AMDGPU.csdata,"",@progbits
; Kernel info:
; codeLenInByte = 320
; TotalNumSgprs: 18
; NumVgprs: 6
; NumAgprs: 0
; TotalNumVgprs: 6
; ScratchSize: 0
; MemoryBound: 0
; FloatMode: 240
; IeeeMode: 1
; LDSByteSize: 0 bytes/workgroup (compile time only)
; SGPRBlocks: 2
; VGPRBlocks: 0
; NumSGPRsForWavesPerEU: 18
; NumVGPRsForWavesPerEU: 6
; AccumOffset: 8
; Occupancy: 8
; WaveLimiterHint : 0
; COMPUTE_PGM_RSRC2:SCRATCH_EN: 0
; COMPUTE_PGM_RSRC2:USER_SGPR: 2
; COMPUTE_PGM_RSRC2:TRAP_HANDLER: 0
; COMPUTE_PGM_RSRC2:TGID_X_EN: 1
; COMPUTE_PGM_RSRC2:TGID_Y_EN: 0
; COMPUTE_PGM_RSRC2:TGID_Z_EN: 0
; COMPUTE_PGM_RSRC2:TIDIG_COMP_CNT: 0
; COMPUTE_PGM_RSRC3_GFX90A:ACCUM_OFFSET: 1
; COMPUTE_PGM_RSRC3_GFX90A:TG_SPLIT: 0
	.section	.text._ZN7rocprim17ROCPRIM_304000_NS6detail31init_lookback_scan_state_kernelINS1_19lookback_scan_stateIfLb0ELb1EEEEEvT_jjPNS5_10value_typeE,"axG",@progbits,_ZN7rocprim17ROCPRIM_304000_NS6detail31init_lookback_scan_state_kernelINS1_19lookback_scan_stateIfLb0ELb1EEEEEvT_jjPNS5_10value_typeE,comdat
	.protected	_ZN7rocprim17ROCPRIM_304000_NS6detail31init_lookback_scan_state_kernelINS1_19lookback_scan_stateIfLb0ELb1EEEEEvT_jjPNS5_10value_typeE ; -- Begin function _ZN7rocprim17ROCPRIM_304000_NS6detail31init_lookback_scan_state_kernelINS1_19lookback_scan_stateIfLb0ELb1EEEEEvT_jjPNS5_10value_typeE
	.globl	_ZN7rocprim17ROCPRIM_304000_NS6detail31init_lookback_scan_state_kernelINS1_19lookback_scan_stateIfLb0ELb1EEEEEvT_jjPNS5_10value_typeE
	.p2align	8
	.type	_ZN7rocprim17ROCPRIM_304000_NS6detail31init_lookback_scan_state_kernelINS1_19lookback_scan_stateIfLb0ELb1EEEEEvT_jjPNS5_10value_typeE,@function
_ZN7rocprim17ROCPRIM_304000_NS6detail31init_lookback_scan_state_kernelINS1_19lookback_scan_stateIfLb0ELb1EEEEEvT_jjPNS5_10value_typeE: ; @_ZN7rocprim17ROCPRIM_304000_NS6detail31init_lookback_scan_state_kernelINS1_19lookback_scan_stateIfLb0ELb1EEEEEvT_jjPNS5_10value_typeE
; %bb.0:
	s_load_dword s3, s[0:1], 0x24
	s_load_dwordx2 s[8:9], s[0:1], 0x10
	s_load_dwordx4 s[4:7], s[0:1], 0x0
	s_waitcnt lgkmcnt(0)
	s_and_b32 s0, s3, 0xffff
	s_mul_i32 s2, s2, s0
	s_cmp_eq_u64 s[8:9], 0
	v_add_u32_e32 v0, s2, v0
	s_cbranch_scc1 .LBB69_6
; %bb.1:
	s_cmp_lt_u32 s7, s6
	s_cselect_b32 s0, s7, 0
	s_mov_b32 s3, 0
	v_cmp_eq_u32_e32 vcc, s0, v0
	s_and_saveexec_b64 s[0:1], vcc
	s_cbranch_execz .LBB69_5
; %bb.2:
	s_add_i32 s2, s7, 64
	s_lshl_b64 s[2:3], s[2:3], 3
	s_add_u32 s2, s4, s2
	s_addc_u32 s3, s5, s3
	v_mov_b32_e32 v4, 0
	global_load_dwordx2 v[2:3], v4, s[2:3] sc1
	s_waitcnt vmcnt(0)
	v_and_b32_e32 v5, 0xff, v3
	v_cmp_ne_u64_e32 vcc, 0, v[4:5]
	s_cbranch_vccnz .LBB69_4
.LBB69_3:                               ; =>This Inner Loop Header: Depth=1
	global_load_dwordx2 v[2:3], v4, s[2:3] sc1
	s_waitcnt vmcnt(0)
	v_and_b32_e32 v5, 0xff, v3
	v_cmp_eq_u64_e32 vcc, 0, v[4:5]
	s_cbranch_vccnz .LBB69_3
.LBB69_4:
	v_mov_b32_e32 v1, 0
	global_store_dword v1, v2, s[8:9]
.LBB69_5:
	s_or_b64 exec, exec, s[0:1]
.LBB69_6:
	v_cmp_gt_u32_e32 vcc, s6, v0
	s_and_saveexec_b64 s[0:1], vcc
	s_cbranch_execnz .LBB69_9
; %bb.7:
	s_or_b64 exec, exec, s[0:1]
	v_cmp_gt_u32_e32 vcc, 64, v0
	s_and_saveexec_b64 s[0:1], vcc
	s_cbranch_execnz .LBB69_10
.LBB69_8:
	s_endpgm
.LBB69_9:
	v_add_u32_e32 v2, 64, v0
	v_mov_b32_e32 v3, 0
	v_lshl_add_u64 v[4:5], v[2:3], 3, s[4:5]
	v_mov_b32_e32 v2, v3
	global_store_dwordx2 v[4:5], v[2:3], off
	s_or_b64 exec, exec, s[0:1]
	v_cmp_gt_u32_e32 vcc, 64, v0
	s_and_saveexec_b64 s[0:1], vcc
	s_cbranch_execz .LBB69_8
.LBB69_10:
	v_mov_b32_e32 v1, 0
	v_lshl_add_u64 v[2:3], v[0:1], 3, s[4:5]
	v_mov_b32_e32 v5, 0xff
	v_mov_b32_e32 v4, v1
	global_store_dwordx2 v[2:3], v[4:5], off
	s_endpgm
	.section	.rodata,"a",@progbits
	.p2align	6, 0x0
	.amdhsa_kernel _ZN7rocprim17ROCPRIM_304000_NS6detail31init_lookback_scan_state_kernelINS1_19lookback_scan_stateIfLb0ELb1EEEEEvT_jjPNS5_10value_typeE
		.amdhsa_group_segment_fixed_size 0
		.amdhsa_private_segment_fixed_size 0
		.amdhsa_kernarg_size 280
		.amdhsa_user_sgpr_count 2
		.amdhsa_user_sgpr_dispatch_ptr 0
		.amdhsa_user_sgpr_queue_ptr 0
		.amdhsa_user_sgpr_kernarg_segment_ptr 1
		.amdhsa_user_sgpr_dispatch_id 0
		.amdhsa_user_sgpr_kernarg_preload_length 0
		.amdhsa_user_sgpr_kernarg_preload_offset 0
		.amdhsa_user_sgpr_private_segment_size 0
		.amdhsa_uses_dynamic_stack 0
		.amdhsa_enable_private_segment 0
		.amdhsa_system_sgpr_workgroup_id_x 1
		.amdhsa_system_sgpr_workgroup_id_y 0
		.amdhsa_system_sgpr_workgroup_id_z 0
		.amdhsa_system_sgpr_workgroup_info 0
		.amdhsa_system_vgpr_workitem_id 0
		.amdhsa_next_free_vgpr 6
		.amdhsa_next_free_sgpr 10
		.amdhsa_accum_offset 8
		.amdhsa_reserve_vcc 1
		.amdhsa_float_round_mode_32 0
		.amdhsa_float_round_mode_16_64 0
		.amdhsa_float_denorm_mode_32 3
		.amdhsa_float_denorm_mode_16_64 3
		.amdhsa_dx10_clamp 1
		.amdhsa_ieee_mode 1
		.amdhsa_fp16_overflow 0
		.amdhsa_tg_split 0
		.amdhsa_exception_fp_ieee_invalid_op 0
		.amdhsa_exception_fp_denorm_src 0
		.amdhsa_exception_fp_ieee_div_zero 0
		.amdhsa_exception_fp_ieee_overflow 0
		.amdhsa_exception_fp_ieee_underflow 0
		.amdhsa_exception_fp_ieee_inexact 0
		.amdhsa_exception_int_div_zero 0
	.end_amdhsa_kernel
	.section	.text._ZN7rocprim17ROCPRIM_304000_NS6detail31init_lookback_scan_state_kernelINS1_19lookback_scan_stateIfLb0ELb1EEEEEvT_jjPNS5_10value_typeE,"axG",@progbits,_ZN7rocprim17ROCPRIM_304000_NS6detail31init_lookback_scan_state_kernelINS1_19lookback_scan_stateIfLb0ELb1EEEEEvT_jjPNS5_10value_typeE,comdat
.Lfunc_end69:
	.size	_ZN7rocprim17ROCPRIM_304000_NS6detail31init_lookback_scan_state_kernelINS1_19lookback_scan_stateIfLb0ELb1EEEEEvT_jjPNS5_10value_typeE, .Lfunc_end69-_ZN7rocprim17ROCPRIM_304000_NS6detail31init_lookback_scan_state_kernelINS1_19lookback_scan_stateIfLb0ELb1EEEEEvT_jjPNS5_10value_typeE
                                        ; -- End function
	.set _ZN7rocprim17ROCPRIM_304000_NS6detail31init_lookback_scan_state_kernelINS1_19lookback_scan_stateIfLb0ELb1EEEEEvT_jjPNS5_10value_typeE.num_vgpr, 6
	.set _ZN7rocprim17ROCPRIM_304000_NS6detail31init_lookback_scan_state_kernelINS1_19lookback_scan_stateIfLb0ELb1EEEEEvT_jjPNS5_10value_typeE.num_agpr, 0
	.set _ZN7rocprim17ROCPRIM_304000_NS6detail31init_lookback_scan_state_kernelINS1_19lookback_scan_stateIfLb0ELb1EEEEEvT_jjPNS5_10value_typeE.numbered_sgpr, 10
	.set _ZN7rocprim17ROCPRIM_304000_NS6detail31init_lookback_scan_state_kernelINS1_19lookback_scan_stateIfLb0ELb1EEEEEvT_jjPNS5_10value_typeE.num_named_barrier, 0
	.set _ZN7rocprim17ROCPRIM_304000_NS6detail31init_lookback_scan_state_kernelINS1_19lookback_scan_stateIfLb0ELb1EEEEEvT_jjPNS5_10value_typeE.private_seg_size, 0
	.set _ZN7rocprim17ROCPRIM_304000_NS6detail31init_lookback_scan_state_kernelINS1_19lookback_scan_stateIfLb0ELb1EEEEEvT_jjPNS5_10value_typeE.uses_vcc, 1
	.set _ZN7rocprim17ROCPRIM_304000_NS6detail31init_lookback_scan_state_kernelINS1_19lookback_scan_stateIfLb0ELb1EEEEEvT_jjPNS5_10value_typeE.uses_flat_scratch, 0
	.set _ZN7rocprim17ROCPRIM_304000_NS6detail31init_lookback_scan_state_kernelINS1_19lookback_scan_stateIfLb0ELb1EEEEEvT_jjPNS5_10value_typeE.has_dyn_sized_stack, 0
	.set _ZN7rocprim17ROCPRIM_304000_NS6detail31init_lookback_scan_state_kernelINS1_19lookback_scan_stateIfLb0ELb1EEEEEvT_jjPNS5_10value_typeE.has_recursion, 0
	.set _ZN7rocprim17ROCPRIM_304000_NS6detail31init_lookback_scan_state_kernelINS1_19lookback_scan_stateIfLb0ELb1EEEEEvT_jjPNS5_10value_typeE.has_indirect_call, 0
	.section	.AMDGPU.csdata,"",@progbits
; Kernel info:
; codeLenInByte = 280
; TotalNumSgprs: 16
; NumVgprs: 6
; NumAgprs: 0
; TotalNumVgprs: 6
; ScratchSize: 0
; MemoryBound: 0
; FloatMode: 240
; IeeeMode: 1
; LDSByteSize: 0 bytes/workgroup (compile time only)
; SGPRBlocks: 1
; VGPRBlocks: 0
; NumSGPRsForWavesPerEU: 16
; NumVGPRsForWavesPerEU: 6
; AccumOffset: 8
; Occupancy: 8
; WaveLimiterHint : 0
; COMPUTE_PGM_RSRC2:SCRATCH_EN: 0
; COMPUTE_PGM_RSRC2:USER_SGPR: 2
; COMPUTE_PGM_RSRC2:TRAP_HANDLER: 0
; COMPUTE_PGM_RSRC2:TGID_X_EN: 1
; COMPUTE_PGM_RSRC2:TGID_Y_EN: 0
; COMPUTE_PGM_RSRC2:TGID_Z_EN: 0
; COMPUTE_PGM_RSRC2:TIDIG_COMP_CNT: 0
; COMPUTE_PGM_RSRC3_GFX90A:ACCUM_OFFSET: 1
; COMPUTE_PGM_RSRC3_GFX90A:TG_SPLIT: 0
	.section	.text._ZN7rocprim17ROCPRIM_304000_NS6detail20lookback_scan_kernelILNS1_25lookback_scan_determinismE0ELb0ENS1_19wrapped_scan_configINS0_14default_configEfEEPKfPfSt4plusIfEffNS1_19lookback_scan_stateIfLb1ELb1EEEEEvT2_T3_mT5_T4_T7_jPT6_SK_bb,"axG",@progbits,_ZN7rocprim17ROCPRIM_304000_NS6detail20lookback_scan_kernelILNS1_25lookback_scan_determinismE0ELb0ENS1_19wrapped_scan_configINS0_14default_configEfEEPKfPfSt4plusIfEffNS1_19lookback_scan_stateIfLb1ELb1EEEEEvT2_T3_mT5_T4_T7_jPT6_SK_bb,comdat
	.protected	_ZN7rocprim17ROCPRIM_304000_NS6detail20lookback_scan_kernelILNS1_25lookback_scan_determinismE0ELb0ENS1_19wrapped_scan_configINS0_14default_configEfEEPKfPfSt4plusIfEffNS1_19lookback_scan_stateIfLb1ELb1EEEEEvT2_T3_mT5_T4_T7_jPT6_SK_bb ; -- Begin function _ZN7rocprim17ROCPRIM_304000_NS6detail20lookback_scan_kernelILNS1_25lookback_scan_determinismE0ELb0ENS1_19wrapped_scan_configINS0_14default_configEfEEPKfPfSt4plusIfEffNS1_19lookback_scan_stateIfLb1ELb1EEEEEvT2_T3_mT5_T4_T7_jPT6_SK_bb
	.globl	_ZN7rocprim17ROCPRIM_304000_NS6detail20lookback_scan_kernelILNS1_25lookback_scan_determinismE0ELb0ENS1_19wrapped_scan_configINS0_14default_configEfEEPKfPfSt4plusIfEffNS1_19lookback_scan_stateIfLb1ELb1EEEEEvT2_T3_mT5_T4_T7_jPT6_SK_bb
	.p2align	8
	.type	_ZN7rocprim17ROCPRIM_304000_NS6detail20lookback_scan_kernelILNS1_25lookback_scan_determinismE0ELb0ENS1_19wrapped_scan_configINS0_14default_configEfEEPKfPfSt4plusIfEffNS1_19lookback_scan_stateIfLb1ELb1EEEEEvT2_T3_mT5_T4_T7_jPT6_SK_bb,@function
_ZN7rocprim17ROCPRIM_304000_NS6detail20lookback_scan_kernelILNS1_25lookback_scan_determinismE0ELb0ENS1_19wrapped_scan_configINS0_14default_configEfEEPKfPfSt4plusIfEffNS1_19lookback_scan_stateIfLb1ELb1EEEEEvT2_T3_mT5_T4_T7_jPT6_SK_bb: ; @_ZN7rocprim17ROCPRIM_304000_NS6detail20lookback_scan_kernelILNS1_25lookback_scan_determinismE0ELb0ENS1_19wrapped_scan_configINS0_14default_configEfEEPKfPfSt4plusIfEffNS1_19lookback_scan_stateIfLb1ELb1EEEEEvT2_T3_mT5_T4_T7_jPT6_SK_bb
; %bb.0:
	s_endpgm
	.section	.rodata,"a",@progbits
	.p2align	6, 0x0
	.amdhsa_kernel _ZN7rocprim17ROCPRIM_304000_NS6detail20lookback_scan_kernelILNS1_25lookback_scan_determinismE0ELb0ENS1_19wrapped_scan_configINS0_14default_configEfEEPKfPfSt4plusIfEffNS1_19lookback_scan_stateIfLb1ELb1EEEEEvT2_T3_mT5_T4_T7_jPT6_SK_bb
		.amdhsa_group_segment_fixed_size 0
		.amdhsa_private_segment_fixed_size 0
		.amdhsa_kernarg_size 68
		.amdhsa_user_sgpr_count 2
		.amdhsa_user_sgpr_dispatch_ptr 0
		.amdhsa_user_sgpr_queue_ptr 0
		.amdhsa_user_sgpr_kernarg_segment_ptr 1
		.amdhsa_user_sgpr_dispatch_id 0
		.amdhsa_user_sgpr_kernarg_preload_length 0
		.amdhsa_user_sgpr_kernarg_preload_offset 0
		.amdhsa_user_sgpr_private_segment_size 0
		.amdhsa_uses_dynamic_stack 0
		.amdhsa_enable_private_segment 0
		.amdhsa_system_sgpr_workgroup_id_x 1
		.amdhsa_system_sgpr_workgroup_id_y 0
		.amdhsa_system_sgpr_workgroup_id_z 0
		.amdhsa_system_sgpr_workgroup_info 0
		.amdhsa_system_vgpr_workitem_id 0
		.amdhsa_next_free_vgpr 1
		.amdhsa_next_free_sgpr 0
		.amdhsa_accum_offset 4
		.amdhsa_reserve_vcc 0
		.amdhsa_float_round_mode_32 0
		.amdhsa_float_round_mode_16_64 0
		.amdhsa_float_denorm_mode_32 3
		.amdhsa_float_denorm_mode_16_64 3
		.amdhsa_dx10_clamp 1
		.amdhsa_ieee_mode 1
		.amdhsa_fp16_overflow 0
		.amdhsa_tg_split 0
		.amdhsa_exception_fp_ieee_invalid_op 0
		.amdhsa_exception_fp_denorm_src 0
		.amdhsa_exception_fp_ieee_div_zero 0
		.amdhsa_exception_fp_ieee_overflow 0
		.amdhsa_exception_fp_ieee_underflow 0
		.amdhsa_exception_fp_ieee_inexact 0
		.amdhsa_exception_int_div_zero 0
	.end_amdhsa_kernel
	.section	.text._ZN7rocprim17ROCPRIM_304000_NS6detail20lookback_scan_kernelILNS1_25lookback_scan_determinismE0ELb0ENS1_19wrapped_scan_configINS0_14default_configEfEEPKfPfSt4plusIfEffNS1_19lookback_scan_stateIfLb1ELb1EEEEEvT2_T3_mT5_T4_T7_jPT6_SK_bb,"axG",@progbits,_ZN7rocprim17ROCPRIM_304000_NS6detail20lookback_scan_kernelILNS1_25lookback_scan_determinismE0ELb0ENS1_19wrapped_scan_configINS0_14default_configEfEEPKfPfSt4plusIfEffNS1_19lookback_scan_stateIfLb1ELb1EEEEEvT2_T3_mT5_T4_T7_jPT6_SK_bb,comdat
.Lfunc_end70:
	.size	_ZN7rocprim17ROCPRIM_304000_NS6detail20lookback_scan_kernelILNS1_25lookback_scan_determinismE0ELb0ENS1_19wrapped_scan_configINS0_14default_configEfEEPKfPfSt4plusIfEffNS1_19lookback_scan_stateIfLb1ELb1EEEEEvT2_T3_mT5_T4_T7_jPT6_SK_bb, .Lfunc_end70-_ZN7rocprim17ROCPRIM_304000_NS6detail20lookback_scan_kernelILNS1_25lookback_scan_determinismE0ELb0ENS1_19wrapped_scan_configINS0_14default_configEfEEPKfPfSt4plusIfEffNS1_19lookback_scan_stateIfLb1ELb1EEEEEvT2_T3_mT5_T4_T7_jPT6_SK_bb
                                        ; -- End function
	.set _ZN7rocprim17ROCPRIM_304000_NS6detail20lookback_scan_kernelILNS1_25lookback_scan_determinismE0ELb0ENS1_19wrapped_scan_configINS0_14default_configEfEEPKfPfSt4plusIfEffNS1_19lookback_scan_stateIfLb1ELb1EEEEEvT2_T3_mT5_T4_T7_jPT6_SK_bb.num_vgpr, 0
	.set _ZN7rocprim17ROCPRIM_304000_NS6detail20lookback_scan_kernelILNS1_25lookback_scan_determinismE0ELb0ENS1_19wrapped_scan_configINS0_14default_configEfEEPKfPfSt4plusIfEffNS1_19lookback_scan_stateIfLb1ELb1EEEEEvT2_T3_mT5_T4_T7_jPT6_SK_bb.num_agpr, 0
	.set _ZN7rocprim17ROCPRIM_304000_NS6detail20lookback_scan_kernelILNS1_25lookback_scan_determinismE0ELb0ENS1_19wrapped_scan_configINS0_14default_configEfEEPKfPfSt4plusIfEffNS1_19lookback_scan_stateIfLb1ELb1EEEEEvT2_T3_mT5_T4_T7_jPT6_SK_bb.numbered_sgpr, 0
	.set _ZN7rocprim17ROCPRIM_304000_NS6detail20lookback_scan_kernelILNS1_25lookback_scan_determinismE0ELb0ENS1_19wrapped_scan_configINS0_14default_configEfEEPKfPfSt4plusIfEffNS1_19lookback_scan_stateIfLb1ELb1EEEEEvT2_T3_mT5_T4_T7_jPT6_SK_bb.num_named_barrier, 0
	.set _ZN7rocprim17ROCPRIM_304000_NS6detail20lookback_scan_kernelILNS1_25lookback_scan_determinismE0ELb0ENS1_19wrapped_scan_configINS0_14default_configEfEEPKfPfSt4plusIfEffNS1_19lookback_scan_stateIfLb1ELb1EEEEEvT2_T3_mT5_T4_T7_jPT6_SK_bb.private_seg_size, 0
	.set _ZN7rocprim17ROCPRIM_304000_NS6detail20lookback_scan_kernelILNS1_25lookback_scan_determinismE0ELb0ENS1_19wrapped_scan_configINS0_14default_configEfEEPKfPfSt4plusIfEffNS1_19lookback_scan_stateIfLb1ELb1EEEEEvT2_T3_mT5_T4_T7_jPT6_SK_bb.uses_vcc, 0
	.set _ZN7rocprim17ROCPRIM_304000_NS6detail20lookback_scan_kernelILNS1_25lookback_scan_determinismE0ELb0ENS1_19wrapped_scan_configINS0_14default_configEfEEPKfPfSt4plusIfEffNS1_19lookback_scan_stateIfLb1ELb1EEEEEvT2_T3_mT5_T4_T7_jPT6_SK_bb.uses_flat_scratch, 0
	.set _ZN7rocprim17ROCPRIM_304000_NS6detail20lookback_scan_kernelILNS1_25lookback_scan_determinismE0ELb0ENS1_19wrapped_scan_configINS0_14default_configEfEEPKfPfSt4plusIfEffNS1_19lookback_scan_stateIfLb1ELb1EEEEEvT2_T3_mT5_T4_T7_jPT6_SK_bb.has_dyn_sized_stack, 0
	.set _ZN7rocprim17ROCPRIM_304000_NS6detail20lookback_scan_kernelILNS1_25lookback_scan_determinismE0ELb0ENS1_19wrapped_scan_configINS0_14default_configEfEEPKfPfSt4plusIfEffNS1_19lookback_scan_stateIfLb1ELb1EEEEEvT2_T3_mT5_T4_T7_jPT6_SK_bb.has_recursion, 0
	.set _ZN7rocprim17ROCPRIM_304000_NS6detail20lookback_scan_kernelILNS1_25lookback_scan_determinismE0ELb0ENS1_19wrapped_scan_configINS0_14default_configEfEEPKfPfSt4plusIfEffNS1_19lookback_scan_stateIfLb1ELb1EEEEEvT2_T3_mT5_T4_T7_jPT6_SK_bb.has_indirect_call, 0
	.section	.AMDGPU.csdata,"",@progbits
; Kernel info:
; codeLenInByte = 4
; TotalNumSgprs: 6
; NumVgprs: 0
; NumAgprs: 0
; TotalNumVgprs: 0
; ScratchSize: 0
; MemoryBound: 0
; FloatMode: 240
; IeeeMode: 1
; LDSByteSize: 0 bytes/workgroup (compile time only)
; SGPRBlocks: 0
; VGPRBlocks: 0
; NumSGPRsForWavesPerEU: 6
; NumVGPRsForWavesPerEU: 1
; AccumOffset: 4
; Occupancy: 8
; WaveLimiterHint : 0
; COMPUTE_PGM_RSRC2:SCRATCH_EN: 0
; COMPUTE_PGM_RSRC2:USER_SGPR: 2
; COMPUTE_PGM_RSRC2:TRAP_HANDLER: 0
; COMPUTE_PGM_RSRC2:TGID_X_EN: 1
; COMPUTE_PGM_RSRC2:TGID_Y_EN: 0
; COMPUTE_PGM_RSRC2:TGID_Z_EN: 0
; COMPUTE_PGM_RSRC2:TIDIG_COMP_CNT: 0
; COMPUTE_PGM_RSRC3_GFX90A:ACCUM_OFFSET: 0
; COMPUTE_PGM_RSRC3_GFX90A:TG_SPLIT: 0
	.section	.text._ZN7rocprim17ROCPRIM_304000_NS6detail20lookback_scan_kernelILNS1_25lookback_scan_determinismE0ELb0ENS1_19wrapped_scan_configINS0_14default_configEfEEPKfPfSt4plusIfEffNS1_19lookback_scan_stateIfLb0ELb1EEEEEvT2_T3_mT5_T4_T7_jPT6_SK_bb,"axG",@progbits,_ZN7rocprim17ROCPRIM_304000_NS6detail20lookback_scan_kernelILNS1_25lookback_scan_determinismE0ELb0ENS1_19wrapped_scan_configINS0_14default_configEfEEPKfPfSt4plusIfEffNS1_19lookback_scan_stateIfLb0ELb1EEEEEvT2_T3_mT5_T4_T7_jPT6_SK_bb,comdat
	.protected	_ZN7rocprim17ROCPRIM_304000_NS6detail20lookback_scan_kernelILNS1_25lookback_scan_determinismE0ELb0ENS1_19wrapped_scan_configINS0_14default_configEfEEPKfPfSt4plusIfEffNS1_19lookback_scan_stateIfLb0ELb1EEEEEvT2_T3_mT5_T4_T7_jPT6_SK_bb ; -- Begin function _ZN7rocprim17ROCPRIM_304000_NS6detail20lookback_scan_kernelILNS1_25lookback_scan_determinismE0ELb0ENS1_19wrapped_scan_configINS0_14default_configEfEEPKfPfSt4plusIfEffNS1_19lookback_scan_stateIfLb0ELb1EEEEEvT2_T3_mT5_T4_T7_jPT6_SK_bb
	.globl	_ZN7rocprim17ROCPRIM_304000_NS6detail20lookback_scan_kernelILNS1_25lookback_scan_determinismE0ELb0ENS1_19wrapped_scan_configINS0_14default_configEfEEPKfPfSt4plusIfEffNS1_19lookback_scan_stateIfLb0ELb1EEEEEvT2_T3_mT5_T4_T7_jPT6_SK_bb
	.p2align	8
	.type	_ZN7rocprim17ROCPRIM_304000_NS6detail20lookback_scan_kernelILNS1_25lookback_scan_determinismE0ELb0ENS1_19wrapped_scan_configINS0_14default_configEfEEPKfPfSt4plusIfEffNS1_19lookback_scan_stateIfLb0ELb1EEEEEvT2_T3_mT5_T4_T7_jPT6_SK_bb,@function
_ZN7rocprim17ROCPRIM_304000_NS6detail20lookback_scan_kernelILNS1_25lookback_scan_determinismE0ELb0ENS1_19wrapped_scan_configINS0_14default_configEfEEPKfPfSt4plusIfEffNS1_19lookback_scan_stateIfLb0ELb1EEEEEvT2_T3_mT5_T4_T7_jPT6_SK_bb: ; @_ZN7rocprim17ROCPRIM_304000_NS6detail20lookback_scan_kernelILNS1_25lookback_scan_determinismE0ELb0ENS1_19wrapped_scan_configINS0_14default_configEfEEPKfPfSt4plusIfEffNS1_19lookback_scan_stateIfLb0ELb1EEEEEvT2_T3_mT5_T4_T7_jPT6_SK_bb
; %bb.0:
	s_load_dword s3, s[0:1], 0x28
	s_load_dwordx4 s[20:23], s[0:1], 0x0
	s_load_dwordx2 s[4:5], s[0:1], 0x10
	s_mul_i32 s6, s2, 0xe00
	s_mov_b32 s7, 0
	s_waitcnt lgkmcnt(0)
	s_add_i32 s3, s3, -1
	s_mul_i32 s8, s3, 0xe00
	s_sub_u32 s28, s4, s8
	s_subb_u32 s29, s5, 0
	s_cmp_lg_u32 s2, s3
	s_cselect_b64 s[24:25], -1, 0
	s_lshl_b64 s[26:27], s[6:7], 2
	s_add_u32 s6, s20, s26
	s_addc_u32 s7, s21, s27
	s_mov_b64 s[4:5], -1
	s_and_b64 vcc, exec, s[24:25]
	v_lshlrev_b32_e32 v30, 2, v0
	s_cbranch_vccz .LBB71_2
; %bb.1:
	v_mov_b32_e32 v31, 0
	v_lshl_add_u64 v[2:3], s[6:7], 0, v[30:31]
	v_add_co_u32_e32 v4, vcc, 0x1000, v2
	global_load_dword v1, v30, s[6:7]
	global_load_dword v8, v30, s[6:7] offset:1024
	global_load_dword v9, v30, s[6:7] offset:2048
	;; [unrolled: 1-line block ×3, first 2 shown]
	v_addc_co_u32_e32 v5, vcc, 0, v3, vcc
	v_add_co_u32_e32 v6, vcc, 0x2000, v2
	s_mov_b64 s[4:5], 0
	s_nop 0
	v_addc_co_u32_e32 v7, vcc, 0, v3, vcc
	v_add_co_u32_e32 v2, vcc, 0x3000, v2
	global_load_dword v11, v[4:5], off
	global_load_dword v12, v[4:5], off offset:1024
	global_load_dword v13, v[4:5], off offset:2048
	;; [unrolled: 1-line block ×3, first 2 shown]
	global_load_dword v15, v[6:7], off
	global_load_dword v16, v[6:7], off offset:1024
	global_load_dword v17, v[6:7], off offset:2048
	;; [unrolled: 1-line block ×3, first 2 shown]
	v_addc_co_u32_e32 v3, vcc, 0, v3, vcc
	global_load_dword v4, v[2:3], off
	global_load_dword v5, v[2:3], off offset:1024
	s_waitcnt vmcnt(12)
	ds_write2st64_b32 v30, v1, v8 offset1:4
	s_waitcnt vmcnt(10)
	ds_write2st64_b32 v30, v9, v10 offset0:8 offset1:12
	s_waitcnt vmcnt(8)
	ds_write2st64_b32 v30, v11, v12 offset0:16 offset1:20
	;; [unrolled: 2-line block ×6, first 2 shown]
	s_waitcnt lgkmcnt(0)
	s_barrier
.LBB71_2:
	s_andn2_b64 vcc, exec, s[4:5]
	v_cmp_gt_u32_e64 s[4:5], s28, v0
	s_cbranch_vccnz .LBB71_32
; %bb.3:
	s_load_dword s8, s[6:7], 0x0
	v_mov_b32_e32 v31, 0
	v_lshl_add_u64 v[18:19], s[6:7], 0, v[30:31]
	s_waitcnt lgkmcnt(0)
	s_mov_b32 s9, s8
	s_mov_b32 s10, s8
	s_mov_b32 s11, s8
	s_mov_b32 s12, s8
	s_mov_b32 s13, s8
	s_mov_b32 s14, s8
	s_mov_b32 s15, s8
	s_mov_b32 s16, s8
	s_mov_b32 s17, s8
	s_mov_b32 s18, s8
	s_mov_b32 s19, s8
	s_mov_b32 s20, s8
	s_mov_b32 s21, s8
	v_mov_b64_e32 v[2:3], s[8:9]
	v_mov_b64_e32 v[4:5], s[10:11]
	;; [unrolled: 1-line block ×7, first 2 shown]
	v_mov_b32_e32 v1, s8
	v_mov_b64_e32 v[16:17], s[22:23]
	s_and_saveexec_b64 s[6:7], s[4:5]
	s_cbranch_execz .LBB71_5
; %bb.4:
	global_load_dword v1, v[18:19], off
	v_mov_b32_e32 v3, s8
	v_mov_b32_e32 v4, s8
	;; [unrolled: 1-line block ×13, first 2 shown]
.LBB71_5:
	s_or_b64 exec, exec, s[6:7]
	v_or_b32_e32 v2, 0x100, v0
	v_cmp_gt_u32_e32 vcc, s28, v2
	s_and_saveexec_b64 s[4:5], vcc
	s_cbranch_execz .LBB71_7
; %bb.6:
	global_load_dword v3, v[18:19], off offset:1024
.LBB71_7:
	s_or_b64 exec, exec, s[4:5]
	v_or_b32_e32 v2, 0x200, v0
	v_cmp_gt_u32_e32 vcc, s28, v2
	s_and_saveexec_b64 s[4:5], vcc
	s_cbranch_execz .LBB71_9
; %bb.8:
	global_load_dword v4, v[18:19], off offset:2048
.LBB71_9:
	;; [unrolled: 8-line block ×3, first 2 shown]
	s_or_b64 exec, exec, s[4:5]
	v_or_b32_e32 v2, 0x400, v0
	v_cmp_gt_u32_e32 vcc, s28, v2
	s_and_saveexec_b64 s[4:5], vcc
	s_cbranch_execz .LBB71_13
; %bb.12:
	v_add_co_u32_e32 v16, vcc, 0x1000, v18
	s_nop 1
	v_addc_co_u32_e32 v17, vcc, 0, v19, vcc
	global_load_dword v6, v[16:17], off
.LBB71_13:
	s_or_b64 exec, exec, s[4:5]
	v_or_b32_e32 v2, 0x500, v0
	v_cmp_gt_u32_e32 vcc, s28, v2
	s_and_saveexec_b64 s[4:5], vcc
	s_cbranch_execz .LBB71_15
; %bb.14:
	v_add_co_u32_e32 v16, vcc, 0x1000, v18
	s_nop 1
	v_addc_co_u32_e32 v17, vcc, 0, v19, vcc
	global_load_dword v7, v[16:17], off offset:1024
.LBB71_15:
	s_or_b64 exec, exec, s[4:5]
	v_or_b32_e32 v2, 0x600, v0
	v_cmp_gt_u32_e32 vcc, s28, v2
	s_and_saveexec_b64 s[4:5], vcc
	s_cbranch_execz .LBB71_17
; %bb.16:
	v_add_co_u32_e32 v16, vcc, 0x1000, v18
	s_nop 1
	v_addc_co_u32_e32 v17, vcc, 0, v19, vcc
	global_load_dword v8, v[16:17], off offset:2048
.LBB71_17:
	;; [unrolled: 11-line block ×3, first 2 shown]
	s_or_b64 exec, exec, s[4:5]
	v_or_b32_e32 v2, 0x800, v0
	v_cmp_gt_u32_e32 vcc, s28, v2
	s_and_saveexec_b64 s[4:5], vcc
	s_cbranch_execz .LBB71_21
; %bb.20:
	v_add_co_u32_e32 v16, vcc, 0x2000, v18
	s_nop 1
	v_addc_co_u32_e32 v17, vcc, 0, v19, vcc
	global_load_dword v10, v[16:17], off
.LBB71_21:
	s_or_b64 exec, exec, s[4:5]
	v_or_b32_e32 v2, 0x900, v0
	v_cmp_gt_u32_e32 vcc, s28, v2
	s_and_saveexec_b64 s[4:5], vcc
	s_cbranch_execz .LBB71_23
; %bb.22:
	v_add_co_u32_e32 v16, vcc, 0x2000, v18
	s_nop 1
	v_addc_co_u32_e32 v17, vcc, 0, v19, vcc
	global_load_dword v11, v[16:17], off offset:1024
.LBB71_23:
	s_or_b64 exec, exec, s[4:5]
	v_or_b32_e32 v2, 0xa00, v0
	v_cmp_gt_u32_e32 vcc, s28, v2
	s_and_saveexec_b64 s[4:5], vcc
	s_cbranch_execz .LBB71_25
; %bb.24:
	v_add_co_u32_e32 v16, vcc, 0x2000, v18
	s_nop 1
	v_addc_co_u32_e32 v17, vcc, 0, v19, vcc
	global_load_dword v12, v[16:17], off offset:2048
.LBB71_25:
	;; [unrolled: 11-line block ×3, first 2 shown]
	s_or_b64 exec, exec, s[4:5]
	v_or_b32_e32 v2, 0xc00, v0
	v_cmp_gt_u32_e32 vcc, s28, v2
	s_and_saveexec_b64 s[4:5], vcc
	s_cbranch_execz .LBB71_29
; %bb.28:
	v_add_co_u32_e32 v16, vcc, 0x3000, v18
	s_nop 1
	v_addc_co_u32_e32 v17, vcc, 0, v19, vcc
	global_load_dword v14, v[16:17], off
.LBB71_29:
	s_or_b64 exec, exec, s[4:5]
	v_or_b32_e32 v2, 0xd00, v0
	v_cmp_gt_u32_e32 vcc, s28, v2
	s_and_saveexec_b64 s[4:5], vcc
	s_cbranch_execz .LBB71_31
; %bb.30:
	v_add_co_u32_e32 v16, vcc, 0x3000, v18
	s_nop 1
	v_addc_co_u32_e32 v17, vcc, 0, v19, vcc
	global_load_dword v15, v[16:17], off offset:1024
.LBB71_31:
	s_or_b64 exec, exec, s[4:5]
	s_waitcnt vmcnt(0)
	ds_write2st64_b32 v30, v1, v3 offset1:4
	ds_write2st64_b32 v30, v4, v5 offset0:8 offset1:12
	ds_write2st64_b32 v30, v6, v7 offset0:16 offset1:20
	;; [unrolled: 1-line block ×6, first 2 shown]
	s_waitcnt lgkmcnt(0)
	s_barrier
.LBB71_32:
	v_mul_u32_u24_e32 v1, 56, v0
	ds_read2_b64 v[2:5], v1 offset1:1
	ds_read2_b64 v[26:29], v1 offset0:2 offset1:3
	ds_read2_b64 v[22:25], v1 offset0:4 offset1:5
	ds_read_b64 v[32:33], v1 offset:48
	s_load_dwordx2 s[8:9], s[0:1], 0x20
	s_cmp_lg_u32 s2, 0
	v_lshrrev_b32_e32 v31, 3, v0
	v_cmp_gt_u32_e32 vcc, 64, v0
	s_waitcnt lgkmcnt(0)
	s_barrier
	s_cbranch_scc0 .LBB71_52
; %bb.33:
	v_add_f32_e32 v6, v2, v3
	v_add_f32_e32 v6, v4, v6
	v_add_f32_e32 v6, v5, v6
	v_add_f32_e32 v6, v26, v6
	v_add_f32_e32 v6, v27, v6
	v_add_f32_e32 v6, v28, v6
	v_add_f32_e32 v6, v29, v6
	v_add_f32_e32 v6, v22, v6
	v_add_f32_e32 v6, v23, v6
	v_add_f32_e32 v6, v24, v6
	v_add_f32_e32 v6, v25, v6
	v_add_f32_e32 v6, v32, v6
	v_add_f32_e32 v16, v33, v6
	v_and_b32_e32 v6, 28, v31
	v_lshl_add_u32 v6, v0, 2, v6
	ds_write_b32 v6, v16
	s_waitcnt lgkmcnt(0)
	s_barrier
	s_and_saveexec_b64 s[6:7], vcc
	s_cbranch_execz .LBB71_35
; %bb.34:
	v_lshrrev_b32_e32 v6, 1, v0
	v_and_b32_e32 v6, 0x7c, v6
	v_lshl_add_u32 v10, v0, 4, v6
	ds_read2_b32 v[6:7], v10 offset1:1
	ds_read2_b32 v[8:9], v10 offset0:2 offset1:3
	v_mbcnt_lo_u32_b32 v11, -1, 0
	v_mbcnt_hi_u32_b32 v11, -1, v11
	v_and_b32_e32 v12, 15, v11
	s_waitcnt lgkmcnt(1)
	v_add_f32_e32 v13, v6, v7
	s_waitcnt lgkmcnt(0)
	v_add_f32_e32 v13, v13, v8
	v_add_f32_e32 v13, v13, v9
	v_cmp_eq_u32_e64 s[4:5], 0, v12
	s_nop 0
	v_mov_b32_dpp v14, v13 row_shr:1 row_mask:0xf bank_mask:0xf
	v_add_f32_e32 v14, v13, v14
	v_cndmask_b32_e64 v13, v14, v13, s[4:5]
	v_cmp_lt_u32_e64 s[4:5], 1, v12
	s_nop 0
	v_mov_b32_dpp v14, v13 row_shr:2 row_mask:0xf bank_mask:0xf
	v_add_f32_e32 v14, v13, v14
	v_cndmask_b32_e64 v13, v13, v14, s[4:5]
	v_cmp_lt_u32_e64 s[4:5], 3, v12
	;; [unrolled: 5-line block ×3, first 2 shown]
	s_nop 0
	v_mov_b32_dpp v14, v13 row_shr:8 row_mask:0xf bank_mask:0xf
	v_add_f32_e32 v14, v13, v14
	v_cndmask_b32_e64 v12, v13, v14, s[4:5]
	v_and_b32_e32 v14, 16, v11
	v_cmp_eq_u32_e64 s[4:5], 0, v14
	v_mov_b32_dpp v13, v12 row_bcast:15 row_mask:0xf bank_mask:0xf
	v_add_f32_e32 v13, v12, v13
	v_cndmask_b32_e64 v12, v13, v12, s[4:5]
	v_cmp_lt_u32_e64 s[4:5], 31, v11
	v_and_b32_e32 v14, 64, v11
	v_mov_b32_dpp v13, v12 row_bcast:31 row_mask:0xf bank_mask:0xf
	v_add_f32_e32 v13, v12, v13
	v_cndmask_b32_e64 v12, v12, v13, s[4:5]
	v_add_u32_e32 v13, -1, v11
	v_cmp_lt_i32_e64 s[4:5], v13, v14
	s_nop 1
	v_cndmask_b32_e64 v11, v13, v11, s[4:5]
	v_lshlrev_b32_e32 v11, 2, v11
	ds_bpermute_b32 v11, v11, v12
	v_cmp_eq_u32_e64 s[4:5], 0, v0
	s_waitcnt lgkmcnt(0)
	v_add_f32_e32 v6, v6, v11
	v_cndmask_b32_e64 v6, v6, v16, s[4:5]
	v_add_f32_e32 v7, v7, v6
	ds_write2_b32 v10, v6, v7 offset1:1
	v_add_f32_e32 v6, v8, v7
	v_add_f32_e32 v7, v9, v6
	ds_write2_b32 v10, v6, v7 offset0:2 offset1:3
.LBB71_35:
	s_or_b64 exec, exec, s[6:7]
	v_cmp_eq_u32_e64 s[6:7], 0, v0
	v_cmp_ne_u32_e64 s[4:5], 0, v0
	s_waitcnt lgkmcnt(0)
	s_barrier
	s_and_saveexec_b64 s[10:11], s[4:5]
; %bb.36:
	v_add_u32_e32 v6, -1, v0
	v_lshrrev_b32_e32 v7, 3, v6
	v_and_b32_e32 v7, 0x1ffffffc, v7
	v_lshl_add_u32 v6, v6, 2, v7
	ds_read_b32 v16, v6
; %bb.37:
	s_or_b64 exec, exec, s[10:11]
	s_and_saveexec_b64 s[10:11], vcc
	s_cbranch_execz .LBB71_57
; %bb.38:
	v_mov_b32_e32 v13, 0
	ds_read_b32 v6, v13 offset:1048
	v_mbcnt_lo_u32_b32 v7, -1, 0
	v_mbcnt_hi_u32_b32 v9, -1, v7
	s_mov_b32 s15, 0
	v_cmp_eq_u32_e64 s[4:5], 0, v9
	s_and_saveexec_b64 s[12:13], s[4:5]
	s_cbranch_execz .LBB71_40
; %bb.39:
	s_add_i32 s14, s2, 64
	s_lshl_b64 s[14:15], s[14:15], 3
	s_add_u32 s14, s8, s14
	v_mov_b32_e32 v7, 1
	s_addc_u32 s15, s9, s15
	s_waitcnt lgkmcnt(0)
	global_store_dwordx2 v13, v[6:7], s[14:15] sc1
.LBB71_40:
	s_or_b64 exec, exec, s[12:13]
	v_xad_u32 v8, v9, -1, s2
	v_add_u32_e32 v12, 64, v8
	v_lshl_add_u64 v[14:15], v[12:13], 3, s[8:9]
	global_load_dwordx2 v[10:11], v[14:15], off sc1
	s_waitcnt vmcnt(0)
	v_cmp_eq_u16_sdwa s[14:15], v11, v13 src0_sel:BYTE_0 src1_sel:DWORD
	s_and_saveexec_b64 s[12:13], s[14:15]
	s_cbranch_execz .LBB71_44
; %bb.41:
	s_mov_b64 s[14:15], 0
	v_mov_b32_e32 v7, 0
.LBB71_42:                              ; =>This Inner Loop Header: Depth=1
	global_load_dwordx2 v[10:11], v[14:15], off sc1
	s_waitcnt vmcnt(0)
	v_cmp_ne_u16_sdwa s[16:17], v11, v7 src0_sel:BYTE_0 src1_sel:DWORD
	s_or_b64 s[14:15], s[16:17], s[14:15]
	s_andn2_b64 exec, exec, s[14:15]
	s_cbranch_execnz .LBB71_42
; %bb.43:
	s_or_b64 exec, exec, s[14:15]
.LBB71_44:
	s_or_b64 exec, exec, s[12:13]
	v_and_b32_e32 v35, 63, v9
	v_cmp_ne_u32_e32 vcc, 63, v35
	v_mov_b32_e32 v7, 2
	v_cmp_eq_u16_sdwa s[12:13], v11, v7 src0_sel:BYTE_0 src1_sel:DWORD
	v_addc_co_u32_e32 v17, vcc, 0, v9, vcc
	v_lshlrev_b64 v[12:13], v9, -1
	v_lshlrev_b32_e32 v17, 2, v17
	v_and_b32_e32 v14, s13, v13
	ds_bpermute_b32 v19, v17, v10
	v_or_b32_e32 v14, 0x80000000, v14
	v_and_b32_e32 v15, s12, v12
	v_ffbl_b32_e32 v14, v14
	v_add_u32_e32 v14, 32, v14
	v_ffbl_b32_e32 v15, v15
	v_min_u32_e32 v14, v15, v14
	v_add_u32_e32 v18, 1, v9
	s_waitcnt lgkmcnt(0)
	v_add_f32_e32 v15, v10, v19
	v_cmp_gt_u32_e32 vcc, v18, v14
	v_add_u32_e32 v20, 2, v9
	v_add_u32_e32 v34, 4, v9
	v_cndmask_b32_e32 v10, v15, v10, vcc
	v_cmp_gt_u32_e32 vcc, 62, v35
	v_add_u32_e32 v37, 8, v9
	v_add_u32_e32 v39, 16, v9
	v_cndmask_b32_e64 v15, 0, 2, vcc
	v_add_lshl_u32 v19, v15, v9, 2
	ds_bpermute_b32 v15, v19, v10
	v_cmp_gt_u32_e32 vcc, v20, v14
	v_add_u32_e32 v41, 32, v9
	s_waitcnt lgkmcnt(0)
	v_add_f32_e32 v15, v10, v15
	v_cndmask_b32_e32 v10, v15, v10, vcc
	v_cmp_gt_u32_e32 vcc, 60, v35
	s_nop 1
	v_cndmask_b32_e64 v15, 0, 4, vcc
	v_add_lshl_u32 v21, v15, v9, 2
	ds_bpermute_b32 v15, v21, v10
	v_cmp_gt_u32_e32 vcc, v34, v14
	s_waitcnt lgkmcnt(0)
	v_add_f32_e32 v15, v10, v15
	v_cndmask_b32_e32 v10, v15, v10, vcc
	v_cmp_gt_u32_e32 vcc, 56, v35
	s_nop 1
	v_cndmask_b32_e64 v15, 0, 8, vcc
	v_add_lshl_u32 v36, v15, v9, 2
	ds_bpermute_b32 v15, v36, v10
	v_cmp_gt_u32_e32 vcc, v37, v14
	;; [unrolled: 9-line block ×3, first 2 shown]
	s_waitcnt lgkmcnt(0)
	v_add_f32_e32 v15, v10, v15
	v_cndmask_b32_e32 v10, v15, v10, vcc
	v_mov_b32_e32 v15, 0x80
	v_lshl_or_b32 v40, v9, 2, v15
	ds_bpermute_b32 v15, v40, v10
	v_cmp_gt_u32_e32 vcc, v41, v14
	s_waitcnt lgkmcnt(0)
	v_add_f32_e32 v9, v10, v15
	v_cndmask_b32_e32 v10, v9, v10, vcc
	v_mov_b32_e32 v9, 0
	s_branch .LBB71_48
.LBB71_45:                              ;   in Loop: Header=BB71_48 Depth=1
	s_or_b64 exec, exec, s[14:15]
.LBB71_46:                              ;   in Loop: Header=BB71_48 Depth=1
	s_or_b64 exec, exec, s[12:13]
	v_cmp_eq_u16_sdwa s[12:13], v11, v7 src0_sel:BYTE_0 src1_sel:DWORD
	ds_bpermute_b32 v42, v17, v10
	v_subrev_u32_e32 v8, 64, v8
	v_and_b32_e32 v14, s13, v13
	v_or_b32_e32 v14, 0x80000000, v14
	v_and_b32_e32 v15, s12, v12
	v_ffbl_b32_e32 v14, v14
	v_add_u32_e32 v14, 32, v14
	v_ffbl_b32_e32 v15, v15
	v_min_u32_e32 v14, v15, v14
	s_waitcnt lgkmcnt(0)
	v_add_f32_e32 v15, v10, v42
	v_cmp_gt_u32_e32 vcc, v18, v14
	s_mov_b64 s[12:13], 0
	s_nop 0
	v_cndmask_b32_e32 v10, v15, v10, vcc
	ds_bpermute_b32 v15, v19, v10
	v_cmp_gt_u32_e32 vcc, v20, v14
	s_waitcnt lgkmcnt(0)
	v_add_f32_e32 v15, v10, v15
	v_cndmask_b32_e32 v10, v15, v10, vcc
	ds_bpermute_b32 v15, v21, v10
	v_cmp_gt_u32_e32 vcc, v34, v14
	s_waitcnt lgkmcnt(0)
	v_add_f32_e32 v15, v10, v15
	;; [unrolled: 5-line block ×5, first 2 shown]
	v_cndmask_b32_e32 v10, v15, v10, vcc
	v_add_f32_e32 v10, v35, v10
.LBB71_47:                              ;   in Loop: Header=BB71_48 Depth=1
	s_and_b64 vcc, exec, s[12:13]
	s_cbranch_vccnz .LBB71_53
.LBB71_48:                              ; =>This Loop Header: Depth=1
                                        ;     Child Loop BB71_51 Depth 2
	v_cmp_ne_u16_sdwa s[12:13], v11, v7 src0_sel:BYTE_0 src1_sel:DWORD
	v_mov_b32_e32 v35, v10
	s_cmp_lg_u64 s[12:13], exec
	s_mov_b64 s[12:13], -1
                                        ; implicit-def: $vgpr10
                                        ; implicit-def: $vgpr11
	s_cbranch_scc1 .LBB71_47
; %bb.49:                               ;   in Loop: Header=BB71_48 Depth=1
	v_lshl_add_u64 v[14:15], v[8:9], 3, s[8:9]
	global_load_dwordx2 v[10:11], v[14:15], off sc1
	s_waitcnt vmcnt(0)
	v_cmp_eq_u16_sdwa s[14:15], v11, v9 src0_sel:BYTE_0 src1_sel:DWORD
	s_and_saveexec_b64 s[12:13], s[14:15]
	s_cbranch_execz .LBB71_46
; %bb.50:                               ;   in Loop: Header=BB71_48 Depth=1
	s_mov_b64 s[14:15], 0
.LBB71_51:                              ;   Parent Loop BB71_48 Depth=1
                                        ; =>  This Inner Loop Header: Depth=2
	global_load_dwordx2 v[10:11], v[14:15], off sc1
	s_waitcnt vmcnt(0)
	v_cmp_ne_u16_sdwa s[16:17], v11, v9 src0_sel:BYTE_0 src1_sel:DWORD
	s_or_b64 s[14:15], s[16:17], s[14:15]
	s_andn2_b64 exec, exec, s[14:15]
	s_cbranch_execnz .LBB71_51
	s_branch .LBB71_45
.LBB71_52:
                                        ; implicit-def: $vgpr6_vgpr7_vgpr8_vgpr9_vgpr10_vgpr11_vgpr12_vgpr13_vgpr14_vgpr15_vgpr16_vgpr17_vgpr18_vgpr19_vgpr20_vgpr21
	s_load_dwordx4 s[4:7], s[0:1], 0x30
	s_cbranch_execnz .LBB71_58
	s_branch .LBB71_67
.LBB71_53:
	s_and_saveexec_b64 s[12:13], s[4:5]
	s_cbranch_execz .LBB71_55
; %bb.54:
	s_add_i32 s2, s2, 64
	s_mov_b32 s3, 0
	s_lshl_b64 s[2:3], s[2:3], 3
	s_add_u32 s2, s8, s2
	v_add_f32_e32 v6, v6, v35
	v_mov_b32_e32 v7, 2
	s_addc_u32 s3, s9, s3
	v_mov_b32_e32 v8, 0
	global_store_dwordx2 v8, v[6:7], s[2:3] sc1
.LBB71_55:
	s_or_b64 exec, exec, s[12:13]
	s_and_b64 exec, exec, s[6:7]
; %bb.56:
	v_mov_b32_e32 v6, 0
	ds_write_b32 v6, v35
.LBB71_57:
	s_or_b64 exec, exec, s[10:11]
	v_mov_b32_e32 v6, 0
	s_waitcnt lgkmcnt(0)
	s_barrier
	ds_read_b32 v6, v6
	v_add_f32_e32 v7, v2, v16
	v_cndmask_b32_e64 v7, v7, v2, s[6:7]
	s_waitcnt lgkmcnt(0)
	v_add_f32_e32 v6, v7, v6
	v_add_f32_e32 v7, v3, v6
	;; [unrolled: 1-line block ×14, first 2 shown]
	s_load_dwordx4 s[4:7], s[0:1], 0x30
	s_branch .LBB71_67
.LBB71_58:
	s_load_dword s10, s[0:1], 0x40
	v_cmp_eq_u32_e32 vcc, 0, v0
	v_cmp_ne_u32_e64 s[2:3], 0, v0
	s_waitcnt lgkmcnt(0)
	s_bitcmp1_b32 s10, 0
	s_cselect_b64 s[10:11], -1, 0
	s_and_b64 s[12:13], vcc, s[10:11]
	s_and_saveexec_b64 s[10:11], s[12:13]
	s_cbranch_execz .LBB71_60
; %bb.59:
	v_mov_b32_e32 v6, 0
	global_load_dword v6, v6, s[4:5]
	s_waitcnt vmcnt(0)
	v_add_f32_e32 v2, v2, v6
.LBB71_60:
	s_or_b64 exec, exec, s[10:11]
	v_add_f32_e32 v16, v2, v3
	v_add_f32_e32 v17, v4, v16
	;; [unrolled: 1-line block ×12, first 2 shown]
	v_and_b32_e32 v19, 28, v31
	v_add_f32_e32 v15, v33, v14
	v_lshl_add_u32 v19, v0, 2, v19
	v_cmp_gt_u32_e64 s[4:5], 64, v0
	ds_write_b32 v19, v15
	s_waitcnt lgkmcnt(0)
	s_barrier
	s_and_saveexec_b64 s[10:11], s[4:5]
	s_cbranch_execz .LBB71_62
; %bb.61:
	v_lshrrev_b32_e32 v19, 1, v0
	v_and_b32_e32 v19, 0x7c, v19
	v_lshl_add_u32 v19, v0, 4, v19
	ds_read2_b32 v[20:21], v19 offset1:1
	ds_read2_b32 v[34:35], v19 offset0:2 offset1:3
	v_mbcnt_lo_u32_b32 v31, -1, 0
	v_mbcnt_hi_u32_b32 v31, -1, v31
	v_and_b32_e32 v36, 15, v31
	s_waitcnt lgkmcnt(1)
	v_add_f32_e32 v37, v20, v21
	s_waitcnt lgkmcnt(0)
	v_add_f32_e32 v37, v37, v34
	v_add_f32_e32 v37, v37, v35
	v_cmp_eq_u32_e64 s[4:5], 0, v36
	s_nop 0
	v_mov_b32_dpp v38, v37 row_shr:1 row_mask:0xf bank_mask:0xf
	v_add_f32_e32 v38, v37, v38
	v_cndmask_b32_e64 v37, v38, v37, s[4:5]
	v_cmp_lt_u32_e64 s[4:5], 1, v36
	s_nop 0
	v_mov_b32_dpp v38, v37 row_shr:2 row_mask:0xf bank_mask:0xf
	v_add_f32_e32 v38, v37, v38
	v_cndmask_b32_e64 v37, v37, v38, s[4:5]
	v_cmp_lt_u32_e64 s[4:5], 3, v36
	;; [unrolled: 5-line block ×3, first 2 shown]
	s_nop 0
	v_mov_b32_dpp v38, v37 row_shr:8 row_mask:0xf bank_mask:0xf
	v_add_f32_e32 v38, v37, v38
	v_cndmask_b32_e64 v36, v37, v38, s[4:5]
	v_and_b32_e32 v38, 16, v31
	v_cmp_eq_u32_e64 s[4:5], 0, v38
	v_mov_b32_dpp v37, v36 row_bcast:15 row_mask:0xf bank_mask:0xf
	v_add_f32_e32 v37, v36, v37
	v_cndmask_b32_e64 v36, v37, v36, s[4:5]
	v_cmp_lt_u32_e64 s[4:5], 31, v31
	v_and_b32_e32 v38, 64, v31
	v_mov_b32_dpp v37, v36 row_bcast:31 row_mask:0xf bank_mask:0xf
	v_add_f32_e32 v37, v36, v37
	v_cndmask_b32_e64 v36, v36, v37, s[4:5]
	v_add_u32_e32 v37, -1, v31
	v_cmp_lt_i32_e64 s[4:5], v37, v38
	s_nop 1
	v_cndmask_b32_e64 v31, v37, v31, s[4:5]
	v_lshlrev_b32_e32 v31, 2, v31
	ds_bpermute_b32 v31, v31, v36
	s_waitcnt lgkmcnt(0)
	v_add_f32_e32 v20, v20, v31
	v_cndmask_b32_e32 v20, v20, v15, vcc
	v_add_f32_e32 v21, v21, v20
	ds_write2_b32 v19, v20, v21 offset1:1
	v_add_f32_e32 v20, v34, v21
	v_add_f32_e32 v21, v35, v20
	ds_write2_b32 v19, v20, v21 offset0:2 offset1:3
.LBB71_62:
	s_or_b64 exec, exec, s[10:11]
	s_waitcnt lgkmcnt(0)
	s_barrier
	s_and_saveexec_b64 s[4:5], s[2:3]
	s_cbranch_execz .LBB71_64
; %bb.63:
	v_add_u32_e32 v6, -1, v0
	v_lshrrev_b32_e32 v7, 3, v6
	v_and_b32_e32 v7, 0x1ffffffc, v7
	v_lshl_add_u32 v6, v6, 2, v7
	ds_read_b32 v6, v6
	s_waitcnt lgkmcnt(0)
	v_add_f32_e32 v2, v2, v6
	v_add_f32_e32 v16, v3, v2
	;; [unrolled: 1-line block ×14, first 2 shown]
.LBB71_64:
	s_or_b64 exec, exec, s[4:5]
	s_and_saveexec_b64 s[2:3], vcc
	s_cbranch_execz .LBB71_66
; %bb.65:
	v_mov_b32_e32 v3, 0
	ds_read_b32 v4, v3 offset:1048
	v_mov_b32_e32 v5, 2
	s_waitcnt lgkmcnt(0)
	global_store_dwordx2 v3, v[4:5], s[8:9] offset:512 sc1
.LBB71_66:
	s_or_b64 exec, exec, s[2:3]
	v_mov_b32_e32 v3, v16
	v_mov_b32_e32 v4, v17
	;; [unrolled: 1-line block ×3, first 2 shown]
	v_mov_b64_e32 v[20:21], v[16:17]
	v_mov_b64_e32 v[18:19], v[14:15]
	;; [unrolled: 1-line block ×8, first 2 shown]
.LBB71_67:
	s_add_u32 s2, s22, s26
	s_addc_u32 s3, s23, s27
	s_waitcnt lgkmcnt(0)
	s_mov_b64 s[4:5], -1
	s_and_b64 vcc, exec, s[24:25]
	s_barrier
	s_cbranch_vccz .LBB71_69
; %bb.68:
	v_mov_b32_e32 v31, 0
	ds_write2_b64 v1, v[6:7], v[8:9] offset1:1
	ds_write2_b64 v1, v[10:11], v[12:13] offset0:2 offset1:3
	ds_write2_b64 v1, v[14:15], v[16:17] offset0:4 offset1:5
	ds_write_b64 v1, v[18:19] offset:48
	s_waitcnt lgkmcnt(0)
	s_barrier
	ds_read2st64_b32 v[2:3], v30 offset1:4
	ds_read2st64_b32 v[4:5], v30 offset0:8 offset1:12
	ds_read2st64_b32 v[20:21], v30 offset0:16 offset1:20
	;; [unrolled: 1-line block ×6, first 2 shown]
	v_lshl_add_u64 v[32:33], s[2:3], 0, v[30:31]
	s_movk_i32 s4, 0x1000
	s_waitcnt lgkmcnt(6)
	global_store_dword v30, v2, s[2:3]
	global_store_dword v30, v3, s[2:3] offset:1024
	s_waitcnt lgkmcnt(5)
	global_store_dword v30, v4, s[2:3] offset:2048
	global_store_dword v30, v5, s[2:3] offset:3072
	v_add_co_u32_e32 v2, vcc, s4, v32
	s_movk_i32 s4, 0x2000
	s_nop 0
	v_addc_co_u32_e32 v3, vcc, 0, v33, vcc
	v_add_co_u32_e32 v4, vcc, s4, v32
	s_mov_b64 s[4:5], 0
	s_nop 0
	v_addc_co_u32_e32 v5, vcc, 0, v33, vcc
	s_waitcnt lgkmcnt(4)
	global_store_dword v[4:5], v20, off offset:-4096
	global_store_dword v[2:3], v21, off offset:1024
	s_waitcnt lgkmcnt(3)
	global_store_dword v[2:3], v22, off offset:2048
	global_store_dword v[2:3], v23, off offset:3072
	s_waitcnt lgkmcnt(2)
	global_store_dword v[4:5], v24, off
	global_store_dword v[4:5], v25, off offset:1024
	s_waitcnt lgkmcnt(1)
	global_store_dword v[4:5], v26, off offset:2048
	global_store_dword v[4:5], v27, off offset:3072
	v_add_co_u32_e32 v2, vcc, 0x3000, v32
	s_nop 1
	v_addc_co_u32_e32 v3, vcc, 0, v33, vcc
	s_waitcnt lgkmcnt(0)
	global_store_dword v[2:3], v28, off
	global_store_dword v[2:3], v29, off offset:1024
.LBB71_69:
	s_andn2_b64 vcc, exec, s[4:5]
	s_cbranch_vccnz .LBB71_149
; %bb.70:
	s_movk_i32 s4, 0xffcc
	ds_write2_b64 v1, v[6:7], v[8:9] offset1:1
	ds_write2_b64 v1, v[10:11], v[12:13] offset0:2 offset1:3
	ds_write2_b64 v1, v[14:15], v[16:17] offset0:4 offset1:5
	ds_write_b64 v1, v[18:19] offset:48
	v_mad_i32_i24 v1, v0, s4, v1
	s_waitcnt lgkmcnt(0)
	s_barrier
	ds_read2st64_b32 v[6:7], v1 offset1:4
	ds_read2st64_b32 v[8:9], v1 offset0:8 offset1:12
	ds_read2st64_b32 v[10:11], v1 offset0:16 offset1:20
	ds_read2st64_b32 v[4:5], v1 offset0:24 offset1:28
	ds_read2st64_b32 v[14:15], v1 offset0:32 offset1:36
	ds_read2st64_b32 v[12:13], v1 offset0:40 offset1:44
	ds_read2st64_b32 v[16:17], v1 offset0:48 offset1:52
	v_mov_b32_e32 v31, 0
	v_lshl_add_u64 v[2:3], s[2:3], 0, v[30:31]
	v_cmp_gt_u32_e32 vcc, s28, v0
	s_and_saveexec_b64 s[2:3], vcc
	s_cbranch_execz .LBB71_72
; %bb.71:
	s_waitcnt lgkmcnt(6)
	global_store_dword v[2:3], v6, off
.LBB71_72:
	s_or_b64 exec, exec, s[2:3]
	v_or_b32_e32 v1, 0x100, v0
	v_cmp_gt_u32_e32 vcc, s28, v1
	s_and_saveexec_b64 s[2:3], vcc
	s_cbranch_execz .LBB71_74
; %bb.73:
	s_waitcnt lgkmcnt(6)
	global_store_dword v[2:3], v7, off offset:1024
.LBB71_74:
	s_or_b64 exec, exec, s[2:3]
	v_or_b32_e32 v1, 0x200, v0
	v_cmp_gt_u32_e32 vcc, s28, v1
	s_and_saveexec_b64 s[2:3], vcc
	s_cbranch_execz .LBB71_76
; %bb.75:
	s_waitcnt lgkmcnt(5)
	global_store_dword v[2:3], v8, off offset:2048
.LBB71_76:
	;; [unrolled: 9-line block ×3, first 2 shown]
	s_or_b64 exec, exec, s[2:3]
	v_or_b32_e32 v1, 0x400, v0
	v_cmp_gt_u32_e32 vcc, s28, v1
	s_and_saveexec_b64 s[2:3], vcc
	s_cbranch_execz .LBB71_80
; %bb.79:
	v_add_co_u32_e32 v18, vcc, 0x1000, v2
	s_nop 1
	v_addc_co_u32_e32 v19, vcc, 0, v3, vcc
	s_waitcnt lgkmcnt(4)
	global_store_dword v[18:19], v10, off
.LBB71_80:
	s_or_b64 exec, exec, s[2:3]
	v_or_b32_e32 v1, 0x500, v0
	v_cmp_gt_u32_e32 vcc, s28, v1
	s_and_saveexec_b64 s[2:3], vcc
	s_cbranch_execz .LBB71_82
; %bb.81:
	v_add_co_u32_e32 v18, vcc, 0x1000, v2
	s_nop 1
	v_addc_co_u32_e32 v19, vcc, 0, v3, vcc
	s_waitcnt lgkmcnt(4)
	global_store_dword v[18:19], v11, off offset:1024
.LBB71_82:
	s_or_b64 exec, exec, s[2:3]
	v_or_b32_e32 v1, 0x600, v0
	v_cmp_gt_u32_e32 vcc, s28, v1
	s_and_saveexec_b64 s[2:3], vcc
	s_cbranch_execz .LBB71_84
; %bb.83:
	v_add_co_u32_e32 v18, vcc, 0x1000, v2
	s_nop 1
	v_addc_co_u32_e32 v19, vcc, 0, v3, vcc
	s_waitcnt lgkmcnt(3)
	global_store_dword v[18:19], v4, off offset:2048
.LBB71_84:
	;; [unrolled: 12-line block ×3, first 2 shown]
	s_or_b64 exec, exec, s[2:3]
	v_or_b32_e32 v1, 0x800, v0
	v_cmp_gt_u32_e32 vcc, s28, v1
	s_and_saveexec_b64 s[2:3], vcc
	s_cbranch_execz .LBB71_88
; %bb.87:
	v_add_co_u32_e32 v18, vcc, 0x2000, v2
	s_nop 1
	v_addc_co_u32_e32 v19, vcc, 0, v3, vcc
	s_waitcnt lgkmcnt(2)
	global_store_dword v[18:19], v14, off
.LBB71_88:
	s_or_b64 exec, exec, s[2:3]
	v_or_b32_e32 v1, 0x900, v0
	v_cmp_gt_u32_e32 vcc, s28, v1
	s_and_saveexec_b64 s[2:3], vcc
	s_cbranch_execz .LBB71_90
; %bb.89:
	v_add_co_u32_e32 v18, vcc, 0x2000, v2
	s_nop 1
	v_addc_co_u32_e32 v19, vcc, 0, v3, vcc
	s_waitcnt lgkmcnt(2)
	global_store_dword v[18:19], v15, off offset:1024
.LBB71_90:
	s_or_b64 exec, exec, s[2:3]
	v_or_b32_e32 v1, 0xa00, v0
	v_cmp_gt_u32_e32 vcc, s28, v1
	s_and_saveexec_b64 s[2:3], vcc
	s_cbranch_execz .LBB71_92
; %bb.91:
	v_add_co_u32_e32 v18, vcc, 0x2000, v2
	s_nop 1
	v_addc_co_u32_e32 v19, vcc, 0, v3, vcc
	s_waitcnt lgkmcnt(1)
	global_store_dword v[18:19], v12, off offset:2048
.LBB71_92:
	;; [unrolled: 12-line block ×3, first 2 shown]
	s_or_b64 exec, exec, s[2:3]
	v_or_b32_e32 v1, 0xc00, v0
	v_cmp_gt_u32_e32 vcc, s28, v1
	s_and_saveexec_b64 s[2:3], vcc
	s_cbranch_execz .LBB71_96
; %bb.95:
	v_add_co_u32_e32 v18, vcc, 0x3000, v2
	s_nop 1
	v_addc_co_u32_e32 v19, vcc, 0, v3, vcc
	s_waitcnt lgkmcnt(0)
	global_store_dword v[18:19], v16, off
.LBB71_96:
	s_or_b64 exec, exec, s[2:3]
	v_or_b32_e32 v1, 0xd00, v0
	v_cmp_gt_u32_e32 vcc, s28, v1
	s_and_saveexec_b64 s[2:3], vcc
	s_cbranch_execz .LBB71_98
; %bb.97:
	v_add_co_u32_e32 v2, vcc, 0x3000, v2
	s_nop 1
	v_addc_co_u32_e32 v3, vcc, 0, v3, vcc
	s_waitcnt lgkmcnt(0)
	global_store_dword v[2:3], v17, off offset:1024
.LBB71_98:
	s_or_b64 exec, exec, s[2:3]
	s_load_dword s0, s[0:1], 0x40
	s_waitcnt lgkmcnt(0)
	s_bfe_u32 s0, s0, 0x10008
	s_cmp_eq_u32 s0, 0
	s_cbranch_scc1 .LBB71_149
; %bb.99:
	s_add_u32 s0, s28, -1
	s_addc_u32 s1, s29, -1
	s_lshr_b64 s[2:3], s[0:1], 1
	s_lshr_b32 s5, s1, 1
	s_mul_hi_u32 s3, s2, 0x49249249
	s_mul_i32 s4, s2, 0x49249249
	s_mul_i32 s9, s5, 0x24924925
	s_mul_hi_u32 s2, s2, 0x24924925
	s_mul_hi_u32 s8, s5, 0x24924925
	s_add_u32 s2, s9, s2
	s_addc_u32 s8, s8, 0
	s_add_u32 s2, s4, s2
	s_addc_u32 s2, s3, 0
	;; [unrolled: 2-line block ×3, first 2 shown]
	s_mul_hi_u32 s4, s5, 0x49249249
	s_mul_i32 s5, s5, 0x49249249
	s_add_u32 s2, s5, s2
	s_addc_u32 s3, s4, s3
	v_mov_b32_e32 v1, v31
	s_lshr_b64 s[2:3], s[2:3], 1
	v_cmp_eq_u64_e32 vcc, s[2:3], v[0:1]
	s_and_saveexec_b64 s[2:3], vcc
	s_cbranch_execz .LBB71_149
; %bb.100:
	v_mul_hi_u32_u24_e32 v1, 14, v0
	v_mul_u32_u24_e32 v0, 14, v0
	v_mov_b32_e32 v2, s1
	v_sub_co_u32_e32 v0, vcc, s0, v0
	s_nop 1
	v_subb_co_u32_e32 v1, vcc, v2, v1, vcc
	v_cmp_lt_i64_e32 vcc, 6, v[0:1]
	s_and_saveexec_b64 s[0:1], vcc
	s_xor_b64 s[0:1], exec, s[0:1]
	s_cbranch_execz .LBB71_126
; %bb.101:
	v_cmp_lt_i64_e32 vcc, 9, v[0:1]
	s_and_saveexec_b64 s[2:3], vcc
	s_xor_b64 s[2:3], exec, s[2:3]
	s_cbranch_execz .LBB71_115
; %bb.102:
	;; [unrolled: 5-line block ×4, first 2 shown]
	v_mov_b32_e32 v0, 0
	global_store_dword v0, v17, s[6:7]
                                        ; implicit-def: $vgpr16_vgpr17
.LBB71_105:
	s_andn2_saveexec_b64 s[8:9], s[8:9]
	s_cbranch_execz .LBB71_107
; %bb.106:
	v_mov_b32_e32 v0, 0
	global_store_dword v0, v16, s[6:7]
.LBB71_107:
	s_or_b64 exec, exec, s[8:9]
                                        ; implicit-def: $vgpr12_vgpr13
                                        ; implicit-def: $vgpr0_vgpr1
.LBB71_108:
	s_andn2_saveexec_b64 s[4:5], s[4:5]
	s_cbranch_execz .LBB71_114
; %bb.109:
	v_cmp_lt_i64_e32 vcc, 10, v[0:1]
	s_and_saveexec_b64 s[8:9], vcc
	s_xor_b64 s[8:9], exec, s[8:9]
	s_cbranch_execz .LBB71_111
; %bb.110:
	v_mov_b32_e32 v0, 0
	global_store_dword v0, v13, s[6:7]
                                        ; implicit-def: $vgpr12_vgpr13
.LBB71_111:
	s_andn2_saveexec_b64 s[8:9], s[8:9]
	s_cbranch_execz .LBB71_113
; %bb.112:
	v_mov_b32_e32 v0, 0
	global_store_dword v0, v12, s[6:7]
.LBB71_113:
	s_or_b64 exec, exec, s[8:9]
.LBB71_114:
	s_or_b64 exec, exec, s[4:5]
                                        ; implicit-def: $vgpr4_vgpr5
                                        ; implicit-def: $vgpr0_vgpr1
                                        ; implicit-def: $vgpr14_vgpr15
.LBB71_115:
	s_andn2_saveexec_b64 s[2:3], s[2:3]
	s_cbranch_execz .LBB71_125
; %bb.116:
	v_cmp_lt_i64_e32 vcc, 7, v[0:1]
	s_and_saveexec_b64 s[4:5], vcc
	s_xor_b64 s[4:5], exec, s[4:5]
	s_cbranch_execz .LBB71_122
; %bb.117:
	v_cmp_lt_i64_e32 vcc, 8, v[0:1]
	s_and_saveexec_b64 s[8:9], vcc
	s_xor_b64 s[8:9], exec, s[8:9]
	s_cbranch_execz .LBB71_119
; %bb.118:
	v_mov_b32_e32 v0, 0
	global_store_dword v0, v15, s[6:7]
                                        ; implicit-def: $vgpr14_vgpr15
.LBB71_119:
	s_andn2_saveexec_b64 s[8:9], s[8:9]
	s_cbranch_execz .LBB71_121
; %bb.120:
	v_mov_b32_e32 v0, 0
	global_store_dword v0, v14, s[6:7]
.LBB71_121:
	s_or_b64 exec, exec, s[8:9]
                                        ; implicit-def: $vgpr4_vgpr5
.LBB71_122:
	s_andn2_saveexec_b64 s[4:5], s[4:5]
	s_cbranch_execz .LBB71_124
; %bb.123:
	v_mov_b32_e32 v0, 0
	global_store_dword v0, v5, s[6:7]
.LBB71_124:
	s_or_b64 exec, exec, s[4:5]
.LBB71_125:
	s_or_b64 exec, exec, s[2:3]
                                        ; implicit-def: $vgpr0_vgpr1
                                        ; implicit-def: $vgpr10_vgpr11
                                        ; implicit-def: $vgpr6_vgpr7
                                        ; implicit-def: $vgpr8_vgpr9
                                        ; implicit-def: $vgpr4_vgpr5
.LBB71_126:
	s_andn2_saveexec_b64 s[0:1], s[0:1]
	s_cbranch_execz .LBB71_149
; %bb.127:
	v_cmp_lt_i64_e32 vcc, 3, v[0:1]
	s_and_saveexec_b64 s[0:1], vcc
	s_xor_b64 s[0:1], exec, s[0:1]
	s_cbranch_execz .LBB71_137
; %bb.128:
	v_cmp_lt_i64_e32 vcc, 4, v[0:1]
	s_and_saveexec_b64 s[2:3], vcc
	s_xor_b64 s[2:3], exec, s[2:3]
	;; [unrolled: 5-line block ×3, first 2 shown]
	s_cbranch_execz .LBB71_131
; %bb.130:
	v_mov_b32_e32 v0, 0
	global_store_dword v0, v4, s[6:7]
                                        ; implicit-def: $vgpr10_vgpr11
.LBB71_131:
	s_andn2_saveexec_b64 s[4:5], s[4:5]
	s_cbranch_execz .LBB71_133
; %bb.132:
	v_mov_b32_e32 v0, 0
	global_store_dword v0, v11, s[6:7]
.LBB71_133:
	s_or_b64 exec, exec, s[4:5]
                                        ; implicit-def: $vgpr10_vgpr11
.LBB71_134:
	s_andn2_saveexec_b64 s[2:3], s[2:3]
	s_cbranch_execz .LBB71_136
; %bb.135:
	v_mov_b32_e32 v0, 0
	global_store_dword v0, v10, s[6:7]
.LBB71_136:
	s_or_b64 exec, exec, s[2:3]
                                        ; implicit-def: $vgpr0_vgpr1
                                        ; implicit-def: $vgpr6_vgpr7
                                        ; implicit-def: $vgpr8_vgpr9
.LBB71_137:
	s_andn2_saveexec_b64 s[0:1], s[0:1]
	s_cbranch_execz .LBB71_149
; %bb.138:
	v_cmp_lt_i64_e32 vcc, 1, v[0:1]
	s_and_saveexec_b64 s[0:1], vcc
	s_xor_b64 s[0:1], exec, s[0:1]
	s_cbranch_execz .LBB71_144
; %bb.139:
	v_cmp_lt_i64_e32 vcc, 2, v[0:1]
	s_and_saveexec_b64 s[2:3], vcc
	s_xor_b64 s[2:3], exec, s[2:3]
	s_cbranch_execz .LBB71_141
; %bb.140:
	v_mov_b32_e32 v0, 0
	global_store_dword v0, v9, s[6:7]
                                        ; implicit-def: $vgpr8_vgpr9
.LBB71_141:
	s_andn2_saveexec_b64 s[2:3], s[2:3]
	s_cbranch_execz .LBB71_143
; %bb.142:
	v_mov_b32_e32 v0, 0
	global_store_dword v0, v8, s[6:7]
.LBB71_143:
	s_or_b64 exec, exec, s[2:3]
                                        ; implicit-def: $vgpr6_vgpr7
                                        ; implicit-def: $vgpr0_vgpr1
.LBB71_144:
	s_andn2_saveexec_b64 s[0:1], s[0:1]
	s_cbranch_execz .LBB71_149
; %bb.145:
	v_cmp_ne_u64_e32 vcc, 1, v[0:1]
	s_and_saveexec_b64 s[0:1], vcc
	s_xor_b64 s[0:1], exec, s[0:1]
	s_cbranch_execz .LBB71_147
; %bb.146:
	v_mov_b32_e32 v0, 0
	global_store_dword v0, v6, s[6:7]
                                        ; implicit-def: $vgpr6_vgpr7
.LBB71_147:
	s_andn2_saveexec_b64 s[0:1], s[0:1]
	s_cbranch_execz .LBB71_149
; %bb.148:
	v_mov_b32_e32 v0, 0
	global_store_dword v0, v7, s[6:7]
.LBB71_149:
	s_endpgm
	.section	.rodata,"a",@progbits
	.p2align	6, 0x0
	.amdhsa_kernel _ZN7rocprim17ROCPRIM_304000_NS6detail20lookback_scan_kernelILNS1_25lookback_scan_determinismE0ELb0ENS1_19wrapped_scan_configINS0_14default_configEfEEPKfPfSt4plusIfEffNS1_19lookback_scan_stateIfLb0ELb1EEEEEvT2_T3_mT5_T4_T7_jPT6_SK_bb
		.amdhsa_group_segment_fixed_size 14336
		.amdhsa_private_segment_fixed_size 0
		.amdhsa_kernarg_size 68
		.amdhsa_user_sgpr_count 2
		.amdhsa_user_sgpr_dispatch_ptr 0
		.amdhsa_user_sgpr_queue_ptr 0
		.amdhsa_user_sgpr_kernarg_segment_ptr 1
		.amdhsa_user_sgpr_dispatch_id 0
		.amdhsa_user_sgpr_kernarg_preload_length 0
		.amdhsa_user_sgpr_kernarg_preload_offset 0
		.amdhsa_user_sgpr_private_segment_size 0
		.amdhsa_uses_dynamic_stack 0
		.amdhsa_enable_private_segment 0
		.amdhsa_system_sgpr_workgroup_id_x 1
		.amdhsa_system_sgpr_workgroup_id_y 0
		.amdhsa_system_sgpr_workgroup_id_z 0
		.amdhsa_system_sgpr_workgroup_info 0
		.amdhsa_system_vgpr_workitem_id 0
		.amdhsa_next_free_vgpr 43
		.amdhsa_next_free_sgpr 30
		.amdhsa_accum_offset 44
		.amdhsa_reserve_vcc 1
		.amdhsa_float_round_mode_32 0
		.amdhsa_float_round_mode_16_64 0
		.amdhsa_float_denorm_mode_32 3
		.amdhsa_float_denorm_mode_16_64 3
		.amdhsa_dx10_clamp 1
		.amdhsa_ieee_mode 1
		.amdhsa_fp16_overflow 0
		.amdhsa_tg_split 0
		.amdhsa_exception_fp_ieee_invalid_op 0
		.amdhsa_exception_fp_denorm_src 0
		.amdhsa_exception_fp_ieee_div_zero 0
		.amdhsa_exception_fp_ieee_overflow 0
		.amdhsa_exception_fp_ieee_underflow 0
		.amdhsa_exception_fp_ieee_inexact 0
		.amdhsa_exception_int_div_zero 0
	.end_amdhsa_kernel
	.section	.text._ZN7rocprim17ROCPRIM_304000_NS6detail20lookback_scan_kernelILNS1_25lookback_scan_determinismE0ELb0ENS1_19wrapped_scan_configINS0_14default_configEfEEPKfPfSt4plusIfEffNS1_19lookback_scan_stateIfLb0ELb1EEEEEvT2_T3_mT5_T4_T7_jPT6_SK_bb,"axG",@progbits,_ZN7rocprim17ROCPRIM_304000_NS6detail20lookback_scan_kernelILNS1_25lookback_scan_determinismE0ELb0ENS1_19wrapped_scan_configINS0_14default_configEfEEPKfPfSt4plusIfEffNS1_19lookback_scan_stateIfLb0ELb1EEEEEvT2_T3_mT5_T4_T7_jPT6_SK_bb,comdat
.Lfunc_end71:
	.size	_ZN7rocprim17ROCPRIM_304000_NS6detail20lookback_scan_kernelILNS1_25lookback_scan_determinismE0ELb0ENS1_19wrapped_scan_configINS0_14default_configEfEEPKfPfSt4plusIfEffNS1_19lookback_scan_stateIfLb0ELb1EEEEEvT2_T3_mT5_T4_T7_jPT6_SK_bb, .Lfunc_end71-_ZN7rocprim17ROCPRIM_304000_NS6detail20lookback_scan_kernelILNS1_25lookback_scan_determinismE0ELb0ENS1_19wrapped_scan_configINS0_14default_configEfEEPKfPfSt4plusIfEffNS1_19lookback_scan_stateIfLb0ELb1EEEEEvT2_T3_mT5_T4_T7_jPT6_SK_bb
                                        ; -- End function
	.set _ZN7rocprim17ROCPRIM_304000_NS6detail20lookback_scan_kernelILNS1_25lookback_scan_determinismE0ELb0ENS1_19wrapped_scan_configINS0_14default_configEfEEPKfPfSt4plusIfEffNS1_19lookback_scan_stateIfLb0ELb1EEEEEvT2_T3_mT5_T4_T7_jPT6_SK_bb.num_vgpr, 43
	.set _ZN7rocprim17ROCPRIM_304000_NS6detail20lookback_scan_kernelILNS1_25lookback_scan_determinismE0ELb0ENS1_19wrapped_scan_configINS0_14default_configEfEEPKfPfSt4plusIfEffNS1_19lookback_scan_stateIfLb0ELb1EEEEEvT2_T3_mT5_T4_T7_jPT6_SK_bb.num_agpr, 0
	.set _ZN7rocprim17ROCPRIM_304000_NS6detail20lookback_scan_kernelILNS1_25lookback_scan_determinismE0ELb0ENS1_19wrapped_scan_configINS0_14default_configEfEEPKfPfSt4plusIfEffNS1_19lookback_scan_stateIfLb0ELb1EEEEEvT2_T3_mT5_T4_T7_jPT6_SK_bb.numbered_sgpr, 30
	.set _ZN7rocprim17ROCPRIM_304000_NS6detail20lookback_scan_kernelILNS1_25lookback_scan_determinismE0ELb0ENS1_19wrapped_scan_configINS0_14default_configEfEEPKfPfSt4plusIfEffNS1_19lookback_scan_stateIfLb0ELb1EEEEEvT2_T3_mT5_T4_T7_jPT6_SK_bb.num_named_barrier, 0
	.set _ZN7rocprim17ROCPRIM_304000_NS6detail20lookback_scan_kernelILNS1_25lookback_scan_determinismE0ELb0ENS1_19wrapped_scan_configINS0_14default_configEfEEPKfPfSt4plusIfEffNS1_19lookback_scan_stateIfLb0ELb1EEEEEvT2_T3_mT5_T4_T7_jPT6_SK_bb.private_seg_size, 0
	.set _ZN7rocprim17ROCPRIM_304000_NS6detail20lookback_scan_kernelILNS1_25lookback_scan_determinismE0ELb0ENS1_19wrapped_scan_configINS0_14default_configEfEEPKfPfSt4plusIfEffNS1_19lookback_scan_stateIfLb0ELb1EEEEEvT2_T3_mT5_T4_T7_jPT6_SK_bb.uses_vcc, 1
	.set _ZN7rocprim17ROCPRIM_304000_NS6detail20lookback_scan_kernelILNS1_25lookback_scan_determinismE0ELb0ENS1_19wrapped_scan_configINS0_14default_configEfEEPKfPfSt4plusIfEffNS1_19lookback_scan_stateIfLb0ELb1EEEEEvT2_T3_mT5_T4_T7_jPT6_SK_bb.uses_flat_scratch, 0
	.set _ZN7rocprim17ROCPRIM_304000_NS6detail20lookback_scan_kernelILNS1_25lookback_scan_determinismE0ELb0ENS1_19wrapped_scan_configINS0_14default_configEfEEPKfPfSt4plusIfEffNS1_19lookback_scan_stateIfLb0ELb1EEEEEvT2_T3_mT5_T4_T7_jPT6_SK_bb.has_dyn_sized_stack, 0
	.set _ZN7rocprim17ROCPRIM_304000_NS6detail20lookback_scan_kernelILNS1_25lookback_scan_determinismE0ELb0ENS1_19wrapped_scan_configINS0_14default_configEfEEPKfPfSt4plusIfEffNS1_19lookback_scan_stateIfLb0ELb1EEEEEvT2_T3_mT5_T4_T7_jPT6_SK_bb.has_recursion, 0
	.set _ZN7rocprim17ROCPRIM_304000_NS6detail20lookback_scan_kernelILNS1_25lookback_scan_determinismE0ELb0ENS1_19wrapped_scan_configINS0_14default_configEfEEPKfPfSt4plusIfEffNS1_19lookback_scan_stateIfLb0ELb1EEEEEvT2_T3_mT5_T4_T7_jPT6_SK_bb.has_indirect_call, 0
	.section	.AMDGPU.csdata,"",@progbits
; Kernel info:
; codeLenInByte = 5344
; TotalNumSgprs: 36
; NumVgprs: 43
; NumAgprs: 0
; TotalNumVgprs: 43
; ScratchSize: 0
; MemoryBound: 0
; FloatMode: 240
; IeeeMode: 1
; LDSByteSize: 14336 bytes/workgroup (compile time only)
; SGPRBlocks: 4
; VGPRBlocks: 5
; NumSGPRsForWavesPerEU: 36
; NumVGPRsForWavesPerEU: 43
; AccumOffset: 44
; Occupancy: 8
; WaveLimiterHint : 1
; COMPUTE_PGM_RSRC2:SCRATCH_EN: 0
; COMPUTE_PGM_RSRC2:USER_SGPR: 2
; COMPUTE_PGM_RSRC2:TRAP_HANDLER: 0
; COMPUTE_PGM_RSRC2:TGID_X_EN: 1
; COMPUTE_PGM_RSRC2:TGID_Y_EN: 0
; COMPUTE_PGM_RSRC2:TGID_Z_EN: 0
; COMPUTE_PGM_RSRC2:TIDIG_COMP_CNT: 0
; COMPUTE_PGM_RSRC3_GFX90A:ACCUM_OFFSET: 10
; COMPUTE_PGM_RSRC3_GFX90A:TG_SPLIT: 0
	.section	.text._ZN7rocprim17ROCPRIM_304000_NS6detail16transform_kernelINS1_24wrapped_transform_configINS0_14default_configEfEEfPfS6_NS0_8identityIfEEEEvT1_mT2_T3_,"axG",@progbits,_ZN7rocprim17ROCPRIM_304000_NS6detail16transform_kernelINS1_24wrapped_transform_configINS0_14default_configEfEEfPfS6_NS0_8identityIfEEEEvT1_mT2_T3_,comdat
	.protected	_ZN7rocprim17ROCPRIM_304000_NS6detail16transform_kernelINS1_24wrapped_transform_configINS0_14default_configEfEEfPfS6_NS0_8identityIfEEEEvT1_mT2_T3_ ; -- Begin function _ZN7rocprim17ROCPRIM_304000_NS6detail16transform_kernelINS1_24wrapped_transform_configINS0_14default_configEfEEfPfS6_NS0_8identityIfEEEEvT1_mT2_T3_
	.globl	_ZN7rocprim17ROCPRIM_304000_NS6detail16transform_kernelINS1_24wrapped_transform_configINS0_14default_configEfEEfPfS6_NS0_8identityIfEEEEvT1_mT2_T3_
	.p2align	8
	.type	_ZN7rocprim17ROCPRIM_304000_NS6detail16transform_kernelINS1_24wrapped_transform_configINS0_14default_configEfEEfPfS6_NS0_8identityIfEEEEvT1_mT2_T3_,@function
_ZN7rocprim17ROCPRIM_304000_NS6detail16transform_kernelINS1_24wrapped_transform_configINS0_14default_configEfEEfPfS6_NS0_8identityIfEEEEvT1_mT2_T3_: ; @_ZN7rocprim17ROCPRIM_304000_NS6detail16transform_kernelINS1_24wrapped_transform_configINS0_14default_configEfEEfPfS6_NS0_8identityIfEEEEvT1_mT2_T3_
; %bb.0:
	s_load_dword s3, s[0:1], 0x20
	s_load_dwordx4 s[4:7], s[0:1], 0x0
	s_load_dwordx2 s[8:9], s[0:1], 0x10
	s_lshl_b32 s0, s2, 8
	s_mov_b32 s1, 0
	s_waitcnt lgkmcnt(0)
	s_add_i32 s3, s3, -1
	s_lshl_b64 s[10:11], s[0:1], 2
	s_add_u32 s4, s4, s10
	s_addc_u32 s5, s5, s11
	v_mov_b32_e32 v3, 0
	v_lshlrev_b32_e32 v2, 2, v0
	s_cmp_lg_u32 s2, s3
	v_lshl_add_u64 v[4:5], s[4:5], 0, v[2:3]
	s_cbranch_scc0 .LBB72_2
; %bb.1:
	global_load_dword v3, v[4:5], off
	global_load_dword v1, v[4:5], off offset:512
	s_add_u32 s2, s8, s10
	s_addc_u32 s3, s9, s11
	s_waitcnt vmcnt(1)
	global_store_dword v2, v3, s[2:3]
	s_mov_b64 s[2:3], -1
	s_cbranch_execz .LBB72_3
	s_branch .LBB72_10
.LBB72_2:
	s_mov_b64 s[2:3], 0
                                        ; implicit-def: $vgpr1
.LBB72_3:
	s_sub_i32 s4, s6, s0
	v_mov_b32_e32 v6, 0
	v_cmp_gt_u32_e32 vcc, s4, v0
	v_mov_b32_e32 v7, v6
	s_and_saveexec_b64 s[0:1], vcc
	s_cbranch_execz .LBB72_5
; %bb.4:
	global_load_dword v8, v[4:5], off
	v_mov_b32_e32 v9, v6
	s_waitcnt vmcnt(0)
	v_mov_b64_e32 v[6:7], v[8:9]
.LBB72_5:
	s_or_b64 exec, exec, s[0:1]
	v_or_b32_e32 v0, 0x80, v0
	v_cmp_gt_u32_e64 s[0:1], s4, v0
	s_and_saveexec_b64 s[4:5], s[0:1]
	s_cbranch_execnz .LBB72_13
; %bb.6:
	s_or_b64 exec, exec, s[4:5]
	v_cndmask_b32_e32 v0, 0, v6, vcc
	s_and_saveexec_b64 s[4:5], vcc
	s_cbranch_execnz .LBB72_14
.LBB72_7:
	s_or_b64 exec, exec, s[4:5]
                                        ; implicit-def: $vgpr1
	s_and_saveexec_b64 s[4:5], s[0:1]
	s_cbranch_execz .LBB72_9
.LBB72_8:
	s_waitcnt vmcnt(0)
	v_cndmask_b32_e64 v1, 0, v7, s[0:1]
	s_or_b64 s[2:3], s[2:3], exec
.LBB72_9:
	s_or_b64 exec, exec, s[4:5]
.LBB72_10:
	s_and_saveexec_b64 s[0:1], s[2:3]
	s_cbranch_execnz .LBB72_12
; %bb.11:
	s_endpgm
.LBB72_12:
	s_add_u32 s0, s8, s10
	s_addc_u32 s1, s9, s11
	s_waitcnt vmcnt(1)
	global_store_dword v2, v1, s[0:1] offset:512
	s_endpgm
.LBB72_13:
	global_load_dword v7, v[4:5], off offset:512
	s_or_b64 exec, exec, s[4:5]
	v_cndmask_b32_e32 v0, 0, v6, vcc
	s_and_saveexec_b64 s[4:5], vcc
	s_cbranch_execz .LBB72_7
.LBB72_14:
	s_add_u32 s6, s8, s10
	s_addc_u32 s7, s9, s11
	global_store_dword v2, v0, s[6:7]
	s_or_b64 exec, exec, s[4:5]
                                        ; implicit-def: $vgpr1
	s_and_saveexec_b64 s[4:5], s[0:1]
	s_cbranch_execnz .LBB72_8
	s_branch .LBB72_9
	.section	.rodata,"a",@progbits
	.p2align	6, 0x0
	.amdhsa_kernel _ZN7rocprim17ROCPRIM_304000_NS6detail16transform_kernelINS1_24wrapped_transform_configINS0_14default_configEfEEfPfS6_NS0_8identityIfEEEEvT1_mT2_T3_
		.amdhsa_group_segment_fixed_size 0
		.amdhsa_private_segment_fixed_size 0
		.amdhsa_kernarg_size 288
		.amdhsa_user_sgpr_count 2
		.amdhsa_user_sgpr_dispatch_ptr 0
		.amdhsa_user_sgpr_queue_ptr 0
		.amdhsa_user_sgpr_kernarg_segment_ptr 1
		.amdhsa_user_sgpr_dispatch_id 0
		.amdhsa_user_sgpr_kernarg_preload_length 0
		.amdhsa_user_sgpr_kernarg_preload_offset 0
		.amdhsa_user_sgpr_private_segment_size 0
		.amdhsa_uses_dynamic_stack 0
		.amdhsa_enable_private_segment 0
		.amdhsa_system_sgpr_workgroup_id_x 1
		.amdhsa_system_sgpr_workgroup_id_y 0
		.amdhsa_system_sgpr_workgroup_id_z 0
		.amdhsa_system_sgpr_workgroup_info 0
		.amdhsa_system_vgpr_workitem_id 0
		.amdhsa_next_free_vgpr 10
		.amdhsa_next_free_sgpr 12
		.amdhsa_accum_offset 12
		.amdhsa_reserve_vcc 1
		.amdhsa_float_round_mode_32 0
		.amdhsa_float_round_mode_16_64 0
		.amdhsa_float_denorm_mode_32 3
		.amdhsa_float_denorm_mode_16_64 3
		.amdhsa_dx10_clamp 1
		.amdhsa_ieee_mode 1
		.amdhsa_fp16_overflow 0
		.amdhsa_tg_split 0
		.amdhsa_exception_fp_ieee_invalid_op 0
		.amdhsa_exception_fp_denorm_src 0
		.amdhsa_exception_fp_ieee_div_zero 0
		.amdhsa_exception_fp_ieee_overflow 0
		.amdhsa_exception_fp_ieee_underflow 0
		.amdhsa_exception_fp_ieee_inexact 0
		.amdhsa_exception_int_div_zero 0
	.end_amdhsa_kernel
	.section	.text._ZN7rocprim17ROCPRIM_304000_NS6detail16transform_kernelINS1_24wrapped_transform_configINS0_14default_configEfEEfPfS6_NS0_8identityIfEEEEvT1_mT2_T3_,"axG",@progbits,_ZN7rocprim17ROCPRIM_304000_NS6detail16transform_kernelINS1_24wrapped_transform_configINS0_14default_configEfEEfPfS6_NS0_8identityIfEEEEvT1_mT2_T3_,comdat
.Lfunc_end72:
	.size	_ZN7rocprim17ROCPRIM_304000_NS6detail16transform_kernelINS1_24wrapped_transform_configINS0_14default_configEfEEfPfS6_NS0_8identityIfEEEEvT1_mT2_T3_, .Lfunc_end72-_ZN7rocprim17ROCPRIM_304000_NS6detail16transform_kernelINS1_24wrapped_transform_configINS0_14default_configEfEEfPfS6_NS0_8identityIfEEEEvT1_mT2_T3_
                                        ; -- End function
	.set _ZN7rocprim17ROCPRIM_304000_NS6detail16transform_kernelINS1_24wrapped_transform_configINS0_14default_configEfEEfPfS6_NS0_8identityIfEEEEvT1_mT2_T3_.num_vgpr, 10
	.set _ZN7rocprim17ROCPRIM_304000_NS6detail16transform_kernelINS1_24wrapped_transform_configINS0_14default_configEfEEfPfS6_NS0_8identityIfEEEEvT1_mT2_T3_.num_agpr, 0
	.set _ZN7rocprim17ROCPRIM_304000_NS6detail16transform_kernelINS1_24wrapped_transform_configINS0_14default_configEfEEfPfS6_NS0_8identityIfEEEEvT1_mT2_T3_.numbered_sgpr, 12
	.set _ZN7rocprim17ROCPRIM_304000_NS6detail16transform_kernelINS1_24wrapped_transform_configINS0_14default_configEfEEfPfS6_NS0_8identityIfEEEEvT1_mT2_T3_.num_named_barrier, 0
	.set _ZN7rocprim17ROCPRIM_304000_NS6detail16transform_kernelINS1_24wrapped_transform_configINS0_14default_configEfEEfPfS6_NS0_8identityIfEEEEvT1_mT2_T3_.private_seg_size, 0
	.set _ZN7rocprim17ROCPRIM_304000_NS6detail16transform_kernelINS1_24wrapped_transform_configINS0_14default_configEfEEfPfS6_NS0_8identityIfEEEEvT1_mT2_T3_.uses_vcc, 1
	.set _ZN7rocprim17ROCPRIM_304000_NS6detail16transform_kernelINS1_24wrapped_transform_configINS0_14default_configEfEEfPfS6_NS0_8identityIfEEEEvT1_mT2_T3_.uses_flat_scratch, 0
	.set _ZN7rocprim17ROCPRIM_304000_NS6detail16transform_kernelINS1_24wrapped_transform_configINS0_14default_configEfEEfPfS6_NS0_8identityIfEEEEvT1_mT2_T3_.has_dyn_sized_stack, 0
	.set _ZN7rocprim17ROCPRIM_304000_NS6detail16transform_kernelINS1_24wrapped_transform_configINS0_14default_configEfEEfPfS6_NS0_8identityIfEEEEvT1_mT2_T3_.has_recursion, 0
	.set _ZN7rocprim17ROCPRIM_304000_NS6detail16transform_kernelINS1_24wrapped_transform_configINS0_14default_configEfEEfPfS6_NS0_8identityIfEEEEvT1_mT2_T3_.has_indirect_call, 0
	.section	.AMDGPU.csdata,"",@progbits
; Kernel info:
; codeLenInByte = 340
; TotalNumSgprs: 18
; NumVgprs: 10
; NumAgprs: 0
; TotalNumVgprs: 10
; ScratchSize: 0
; MemoryBound: 0
; FloatMode: 240
; IeeeMode: 1
; LDSByteSize: 0 bytes/workgroup (compile time only)
; SGPRBlocks: 2
; VGPRBlocks: 1
; NumSGPRsForWavesPerEU: 18
; NumVGPRsForWavesPerEU: 10
; AccumOffset: 12
; Occupancy: 8
; WaveLimiterHint : 1
; COMPUTE_PGM_RSRC2:SCRATCH_EN: 0
; COMPUTE_PGM_RSRC2:USER_SGPR: 2
; COMPUTE_PGM_RSRC2:TRAP_HANDLER: 0
; COMPUTE_PGM_RSRC2:TGID_X_EN: 1
; COMPUTE_PGM_RSRC2:TGID_Y_EN: 0
; COMPUTE_PGM_RSRC2:TGID_Z_EN: 0
; COMPUTE_PGM_RSRC2:TIDIG_COMP_CNT: 0
; COMPUTE_PGM_RSRC3_GFX90A:ACCUM_OFFSET: 2
; COMPUTE_PGM_RSRC3_GFX90A:TG_SPLIT: 0
	.section	.text._ZN7rocprim17ROCPRIM_304000_NS6detail18single_scan_kernelILb0ENS1_19wrapped_scan_configINS0_14default_configEfEEPKfPfSt4plusIfEffEEvT1_mT4_T2_T3_,"axG",@progbits,_ZN7rocprim17ROCPRIM_304000_NS6detail18single_scan_kernelILb0ENS1_19wrapped_scan_configINS0_14default_configEfEEPKfPfSt4plusIfEffEEvT1_mT4_T2_T3_,comdat
	.protected	_ZN7rocprim17ROCPRIM_304000_NS6detail18single_scan_kernelILb0ENS1_19wrapped_scan_configINS0_14default_configEfEEPKfPfSt4plusIfEffEEvT1_mT4_T2_T3_ ; -- Begin function _ZN7rocprim17ROCPRIM_304000_NS6detail18single_scan_kernelILb0ENS1_19wrapped_scan_configINS0_14default_configEfEEPKfPfSt4plusIfEffEEvT1_mT4_T2_T3_
	.globl	_ZN7rocprim17ROCPRIM_304000_NS6detail18single_scan_kernelILb0ENS1_19wrapped_scan_configINS0_14default_configEfEEPKfPfSt4plusIfEffEEvT1_mT4_T2_T3_
	.p2align	8
	.type	_ZN7rocprim17ROCPRIM_304000_NS6detail18single_scan_kernelILb0ENS1_19wrapped_scan_configINS0_14default_configEfEEPKfPfSt4plusIfEffEEvT1_mT4_T2_T3_,@function
_ZN7rocprim17ROCPRIM_304000_NS6detail18single_scan_kernelILb0ENS1_19wrapped_scan_configINS0_14default_configEfEEPKfPfSt4plusIfEffEEvT1_mT4_T2_T3_: ; @_ZN7rocprim17ROCPRIM_304000_NS6detail18single_scan_kernelILb0ENS1_19wrapped_scan_configINS0_14default_configEfEEPKfPfSt4plusIfEffEEvT1_mT4_T2_T3_
; %bb.0:
	s_load_dwordx4 s[28:31], s[0:1], 0x0
	v_mov_b32_e32 v19, 0
	v_lshlrev_b32_e32 v18, 2, v0
	s_waitcnt lgkmcnt(0)
	s_load_dword s4, s[28:29], 0x0
	v_lshl_add_u64 v[20:21], s[28:29], 0, v[18:19]
	v_cmp_gt_u32_e64 s[2:3], s30, v0
	s_waitcnt lgkmcnt(0)
	s_mov_b32 s5, s4
	s_mov_b32 s6, s4
	;; [unrolled: 1-line block ×13, first 2 shown]
	v_mov_b64_e32 v[2:3], s[4:5]
	v_mov_b64_e32 v[4:5], s[6:7]
	;; [unrolled: 1-line block ×7, first 2 shown]
	v_mov_b32_e32 v1, s4
	v_mov_b64_e32 v[16:17], s[18:19]
	s_and_saveexec_b64 s[6:7], s[2:3]
	s_cbranch_execz .LBB73_2
; %bb.1:
	global_load_dword v1, v[20:21], off
	v_mov_b32_e32 v3, s4
	v_mov_b32_e32 v4, s4
	;; [unrolled: 1-line block ×13, first 2 shown]
.LBB73_2:
	s_or_b64 exec, exec, s[6:7]
	v_or_b32_e32 v2, 0x100, v0
	v_cmp_gt_u32_e64 s[4:5], s30, v2
	s_and_saveexec_b64 s[6:7], s[4:5]
	s_cbranch_execz .LBB73_4
; %bb.3:
	global_load_dword v3, v[20:21], off offset:1024
.LBB73_4:
	s_or_b64 exec, exec, s[6:7]
	v_or_b32_e32 v2, 0x200, v0
	v_cmp_gt_u32_e64 s[6:7], s30, v2
	s_and_saveexec_b64 s[8:9], s[6:7]
	s_cbranch_execz .LBB73_6
; %bb.5:
	global_load_dword v4, v[20:21], off offset:2048
.LBB73_6:
	;; [unrolled: 8-line block ×3, first 2 shown]
	s_or_b64 exec, exec, s[10:11]
	v_or_b32_e32 v2, 0x400, v0
	v_cmp_gt_u32_e64 s[10:11], s30, v2
	s_and_saveexec_b64 s[12:13], s[10:11]
	s_cbranch_execz .LBB73_10
; %bb.9:
	v_add_co_u32_e32 v16, vcc, 0x1000, v20
	s_nop 1
	v_addc_co_u32_e32 v17, vcc, 0, v21, vcc
	global_load_dword v6, v[16:17], off
.LBB73_10:
	s_or_b64 exec, exec, s[12:13]
	v_or_b32_e32 v2, 0x500, v0
	v_cmp_gt_u32_e64 s[12:13], s30, v2
	s_and_saveexec_b64 s[14:15], s[12:13]
	s_cbranch_execz .LBB73_12
; %bb.11:
	v_add_co_u32_e32 v16, vcc, 0x1000, v20
	s_nop 1
	v_addc_co_u32_e32 v17, vcc, 0, v21, vcc
	global_load_dword v7, v[16:17], off offset:1024
.LBB73_12:
	s_or_b64 exec, exec, s[14:15]
	v_or_b32_e32 v2, 0x600, v0
	v_cmp_gt_u32_e64 s[14:15], s30, v2
	s_and_saveexec_b64 s[16:17], s[14:15]
	s_cbranch_execz .LBB73_14
; %bb.13:
	v_add_co_u32_e32 v16, vcc, 0x1000, v20
	s_nop 1
	v_addc_co_u32_e32 v17, vcc, 0, v21, vcc
	global_load_dword v8, v[16:17], off offset:2048
.LBB73_14:
	;; [unrolled: 11-line block ×3, first 2 shown]
	s_or_b64 exec, exec, s[18:19]
	v_or_b32_e32 v2, 0x800, v0
	v_cmp_gt_u32_e64 s[18:19], s30, v2
	s_and_saveexec_b64 s[20:21], s[18:19]
	s_cbranch_execz .LBB73_18
; %bb.17:
	v_add_co_u32_e32 v16, vcc, 0x2000, v20
	s_nop 1
	v_addc_co_u32_e32 v17, vcc, 0, v21, vcc
	global_load_dword v10, v[16:17], off
.LBB73_18:
	s_or_b64 exec, exec, s[20:21]
	v_or_b32_e32 v2, 0x900, v0
	v_cmp_gt_u32_e64 s[20:21], s30, v2
	s_and_saveexec_b64 s[22:23], s[20:21]
	s_cbranch_execz .LBB73_20
; %bb.19:
	v_add_co_u32_e32 v16, vcc, 0x2000, v20
	s_nop 1
	v_addc_co_u32_e32 v17, vcc, 0, v21, vcc
	global_load_dword v11, v[16:17], off offset:1024
.LBB73_20:
	s_or_b64 exec, exec, s[22:23]
	v_or_b32_e32 v2, 0xa00, v0
	v_cmp_gt_u32_e64 s[22:23], s30, v2
	s_and_saveexec_b64 s[24:25], s[22:23]
	s_cbranch_execz .LBB73_22
; %bb.21:
	v_add_co_u32_e32 v16, vcc, 0x2000, v20
	s_nop 1
	v_addc_co_u32_e32 v17, vcc, 0, v21, vcc
	global_load_dword v12, v[16:17], off offset:2048
.LBB73_22:
	;; [unrolled: 11-line block ×3, first 2 shown]
	s_or_b64 exec, exec, s[26:27]
	v_or_b32_e32 v2, 0xc00, v0
	v_cmp_gt_u32_e64 s[26:27], s30, v2
	s_and_saveexec_b64 s[28:29], s[26:27]
	s_cbranch_execz .LBB73_26
; %bb.25:
	v_add_co_u32_e32 v16, vcc, 0x3000, v20
	s_nop 1
	v_addc_co_u32_e32 v17, vcc, 0, v21, vcc
	global_load_dword v14, v[16:17], off
.LBB73_26:
	s_or_b64 exec, exec, s[28:29]
	v_or_b32_e32 v2, 0xd00, v0
	v_cmp_gt_u32_e64 s[28:29], s30, v2
	s_and_saveexec_b64 s[30:31], s[28:29]
	s_cbranch_execz .LBB73_28
; %bb.27:
	v_add_co_u32_e32 v16, vcc, 0x3000, v20
	s_nop 1
	v_addc_co_u32_e32 v17, vcc, 0, v21, vcc
	global_load_dword v15, v[16:17], off offset:1024
.LBB73_28:
	s_or_b64 exec, exec, s[30:31]
	s_waitcnt vmcnt(0)
	ds_write2st64_b32 v18, v1, v3 offset1:4
	ds_write2st64_b32 v18, v4, v5 offset0:8 offset1:12
	ds_write2st64_b32 v18, v6, v7 offset0:16 offset1:20
	ds_write2st64_b32 v18, v8, v9 offset0:24 offset1:28
	ds_write2st64_b32 v18, v10, v11 offset0:32 offset1:36
	ds_write2st64_b32 v18, v12, v13 offset0:40 offset1:44
	ds_write2st64_b32 v18, v14, v15 offset0:48 offset1:52
	v_mad_u32_u24 v1, v0, 52, v18
	s_waitcnt lgkmcnt(0)
	s_barrier
	ds_read2_b64 v[10:13], v1 offset1:1
	ds_read2_b64 v[6:9], v1 offset0:2 offset1:3
	ds_read2_b64 v[2:5], v1 offset0:4 offset1:5
	ds_read_b64 v[30:31], v1 offset:48
	v_lshrrev_b32_e32 v1, 3, v0
	s_waitcnt lgkmcnt(3)
	v_add_f32_e32 v15, v10, v11
	v_add_f32_e32 v20, v15, v12
	v_add_f32_e32 v21, v20, v13
	s_waitcnt lgkmcnt(2)
	v_add_f32_e32 v16, v21, v6
	v_add_f32_e32 v17, v16, v7
	v_add_f32_e32 v24, v17, v8
	v_add_f32_e32 v25, v24, v9
	s_waitcnt lgkmcnt(1)
	v_add_f32_e32 v22, v25, v2
	;; [unrolled: 5-line block ×3, first 2 shown]
	v_and_b32_e32 v1, 28, v1
	v_add_f32_e32 v29, v28, v31
	v_add_u32_e32 v1, v18, v1
	v_cmp_gt_u32_e32 vcc, 64, v0
	s_barrier
	ds_write_b32 v1, v29
	s_waitcnt lgkmcnt(0)
	s_barrier
	s_and_saveexec_b64 s[30:31], vcc
	s_cbranch_execz .LBB73_30
; %bb.29:
	v_lshrrev_b32_e32 v1, 1, v0
	v_and_b32_e32 v1, 0x7c, v1
	v_lshl_add_u32 v1, v0, 4, v1
	ds_read2_b32 v[32:33], v1 offset1:1
	ds_read2_b32 v[34:35], v1 offset0:2 offset1:3
	v_mbcnt_lo_u32_b32 v14, -1, 0
	v_mbcnt_hi_u32_b32 v14, -1, v14
	v_and_b32_e32 v19, 15, v14
	s_waitcnt lgkmcnt(1)
	v_add_f32_e32 v36, v32, v33
	s_waitcnt lgkmcnt(0)
	v_add_f32_e32 v36, v36, v34
	v_add_f32_e32 v36, v36, v35
	v_cmp_eq_u32_e32 vcc, 0, v19
	s_nop 0
	v_mov_b32_dpp v37, v36 row_shr:1 row_mask:0xf bank_mask:0xf
	v_add_f32_e32 v37, v36, v37
	v_cndmask_b32_e32 v36, v37, v36, vcc
	v_cmp_lt_u32_e32 vcc, 1, v19
	s_nop 0
	v_mov_b32_dpp v37, v36 row_shr:2 row_mask:0xf bank_mask:0xf
	v_add_f32_e32 v37, v36, v37
	v_cndmask_b32_e32 v36, v36, v37, vcc
	v_cmp_lt_u32_e32 vcc, 3, v19
	;; [unrolled: 5-line block ×3, first 2 shown]
	s_nop 0
	v_mov_b32_dpp v37, v36 row_shr:8 row_mask:0xf bank_mask:0xf
	v_add_f32_e32 v37, v36, v37
	v_cndmask_b32_e32 v19, v36, v37, vcc
	v_and_b32_e32 v37, 16, v14
	v_cmp_eq_u32_e32 vcc, 0, v37
	v_mov_b32_dpp v36, v19 row_bcast:15 row_mask:0xf bank_mask:0xf
	v_add_f32_e32 v36, v19, v36
	v_cndmask_b32_e32 v19, v36, v19, vcc
	v_cmp_lt_u32_e32 vcc, 31, v14
	v_and_b32_e32 v37, 64, v14
	v_mov_b32_dpp v36, v19 row_bcast:31 row_mask:0xf bank_mask:0xf
	v_add_f32_e32 v36, v19, v36
	v_cndmask_b32_e32 v19, v19, v36, vcc
	v_add_u32_e32 v36, -1, v14
	v_cmp_lt_i32_e32 vcc, v36, v37
	s_nop 1
	v_cndmask_b32_e32 v14, v36, v14, vcc
	v_lshlrev_b32_e32 v14, 2, v14
	ds_bpermute_b32 v14, v14, v19
	v_cmp_eq_u32_e32 vcc, 0, v0
	s_waitcnt lgkmcnt(0)
	v_add_f32_e32 v14, v32, v14
	v_cndmask_b32_e32 v14, v14, v29, vcc
	v_add_f32_e32 v19, v33, v14
	ds_write2_b32 v1, v14, v19 offset1:1
	v_add_f32_e32 v14, v34, v19
	v_add_f32_e32 v19, v35, v14
	ds_write2_b32 v1, v14, v19 offset0:2 offset1:3
.LBB73_30:
	s_or_b64 exec, exec, s[30:31]
	v_mul_u32_u24_e32 v1, 52, v0
	v_cmp_ne_u32_e32 vcc, 0, v0
	v_mov_b32_e32 v14, v10
	s_waitcnt lgkmcnt(0)
	s_barrier
	s_and_saveexec_b64 s[30:31], vcc
	s_cbranch_execz .LBB73_32
; %bb.31:
	v_add_u32_e32 v0, -1, v0
	v_lshrrev_b32_e32 v14, 3, v0
	v_and_b32_e32 v14, 0x1ffffffc, v14
	v_lshl_add_u32 v0, v0, 2, v14
	ds_read_b32 v0, v0
	s_waitcnt lgkmcnt(0)
	v_add_f32_e32 v14, v10, v0
	v_add_f32_e32 v15, v11, v14
	;; [unrolled: 1-line block ×14, first 2 shown]
.LBB73_32:
	s_or_b64 exec, exec, s[30:31]
	v_add_u32_e32 v0, v18, v1
	s_barrier
	ds_write2_b64 v0, v[14:15], v[20:21] offset1:1
	ds_write2_b64 v0, v[16:17], v[24:25] offset0:2 offset1:3
	ds_write2_b64 v0, v[22:23], v[26:27] offset0:4 offset1:5
	ds_write_b64 v0, v[28:29] offset:48
	s_waitcnt lgkmcnt(0)
	s_barrier
	ds_read2st64_b32 v[12:13], v18 offset0:4 offset1:8
	ds_read2st64_b32 v[10:11], v18 offset0:12 offset1:16
	;; [unrolled: 1-line block ×6, first 2 shown]
	ds_read_b32 v14, v18 offset:13312
	s_load_dwordx2 s[0:1], s[0:1], 0x18
	v_mov_b32_e32 v19, 0
	s_waitcnt lgkmcnt(0)
	v_lshl_add_u64 v[0:1], s[0:1], 0, v[18:19]
	s_and_saveexec_b64 s[0:1], s[2:3]
	s_cbranch_execnz .LBB73_47
; %bb.33:
	s_or_b64 exec, exec, s[0:1]
	s_and_saveexec_b64 s[0:1], s[4:5]
	s_cbranch_execnz .LBB73_48
.LBB73_34:
	s_or_b64 exec, exec, s[0:1]
	s_and_saveexec_b64 s[0:1], s[6:7]
	s_cbranch_execnz .LBB73_49
.LBB73_35:
	s_or_b64 exec, exec, s[0:1]
	s_and_saveexec_b64 s[0:1], s[8:9]
	s_cbranch_execnz .LBB73_50
.LBB73_36:
	s_or_b64 exec, exec, s[0:1]
	s_and_saveexec_b64 s[0:1], s[10:11]
	s_cbranch_execnz .LBB73_51
.LBB73_37:
	s_or_b64 exec, exec, s[0:1]
	s_and_saveexec_b64 s[0:1], s[12:13]
	s_cbranch_execnz .LBB73_52
.LBB73_38:
	s_or_b64 exec, exec, s[0:1]
	s_and_saveexec_b64 s[0:1], s[14:15]
	s_cbranch_execnz .LBB73_53
.LBB73_39:
	s_or_b64 exec, exec, s[0:1]
	s_and_saveexec_b64 s[0:1], s[16:17]
	s_cbranch_execnz .LBB73_54
.LBB73_40:
	s_or_b64 exec, exec, s[0:1]
	s_and_saveexec_b64 s[0:1], s[18:19]
	s_cbranch_execnz .LBB73_55
.LBB73_41:
	s_or_b64 exec, exec, s[0:1]
	s_and_saveexec_b64 s[0:1], s[20:21]
	s_cbranch_execnz .LBB73_56
.LBB73_42:
	s_or_b64 exec, exec, s[0:1]
	s_and_saveexec_b64 s[0:1], s[22:23]
	s_cbranch_execnz .LBB73_57
.LBB73_43:
	s_or_b64 exec, exec, s[0:1]
	s_and_saveexec_b64 s[0:1], s[24:25]
	s_cbranch_execnz .LBB73_58
.LBB73_44:
	s_or_b64 exec, exec, s[0:1]
	s_and_saveexec_b64 s[0:1], s[26:27]
	s_cbranch_execnz .LBB73_59
.LBB73_45:
	s_or_b64 exec, exec, s[0:1]
	s_and_saveexec_b64 s[0:1], s[28:29]
	s_cbranch_execnz .LBB73_60
.LBB73_46:
	s_endpgm
.LBB73_47:
	ds_read_b32 v15, v18
	s_waitcnt lgkmcnt(0)
	global_store_dword v[0:1], v15, off
	s_or_b64 exec, exec, s[0:1]
	s_and_saveexec_b64 s[0:1], s[4:5]
	s_cbranch_execz .LBB73_34
.LBB73_48:
	global_store_dword v[0:1], v12, off offset:1024
	s_or_b64 exec, exec, s[0:1]
	s_and_saveexec_b64 s[0:1], s[6:7]
	s_cbranch_execz .LBB73_35
.LBB73_49:
	global_store_dword v[0:1], v13, off offset:2048
	s_or_b64 exec, exec, s[0:1]
	s_and_saveexec_b64 s[0:1], s[8:9]
	s_cbranch_execz .LBB73_36
.LBB73_50:
	global_store_dword v[0:1], v10, off offset:3072
	s_or_b64 exec, exec, s[0:1]
	s_and_saveexec_b64 s[0:1], s[10:11]
	s_cbranch_execz .LBB73_37
.LBB73_51:
	v_add_co_u32_e32 v12, vcc, 0x1000, v0
	s_nop 1
	v_addc_co_u32_e32 v13, vcc, 0, v1, vcc
	global_store_dword v[12:13], v11, off
	s_or_b64 exec, exec, s[0:1]
	s_and_saveexec_b64 s[0:1], s[12:13]
	s_cbranch_execz .LBB73_38
.LBB73_52:
	v_add_co_u32_e32 v10, vcc, 0x1000, v0
	s_nop 1
	v_addc_co_u32_e32 v11, vcc, 0, v1, vcc
	global_store_dword v[10:11], v8, off offset:1024
	s_or_b64 exec, exec, s[0:1]
	s_and_saveexec_b64 s[0:1], s[14:15]
	s_cbranch_execz .LBB73_39
.LBB73_53:
	v_add_co_u32_e32 v10, vcc, 0x1000, v0
	s_nop 1
	v_addc_co_u32_e32 v11, vcc, 0, v1, vcc
	global_store_dword v[10:11], v9, off offset:2048
	s_or_b64 exec, exec, s[0:1]
	s_and_saveexec_b64 s[0:1], s[16:17]
	s_cbranch_execz .LBB73_40
.LBB73_54:
	v_add_co_u32_e32 v8, vcc, 0x1000, v0
	s_nop 1
	v_addc_co_u32_e32 v9, vcc, 0, v1, vcc
	global_store_dword v[8:9], v6, off offset:3072
	s_or_b64 exec, exec, s[0:1]
	s_and_saveexec_b64 s[0:1], s[18:19]
	s_cbranch_execz .LBB73_41
.LBB73_55:
	v_add_co_u32_e32 v8, vcc, 0x2000, v0
	s_nop 1
	v_addc_co_u32_e32 v9, vcc, 0, v1, vcc
	global_store_dword v[8:9], v7, off
	s_or_b64 exec, exec, s[0:1]
	s_and_saveexec_b64 s[0:1], s[20:21]
	s_cbranch_execz .LBB73_42
.LBB73_56:
	v_add_co_u32_e32 v6, vcc, 0x2000, v0
	s_nop 1
	v_addc_co_u32_e32 v7, vcc, 0, v1, vcc
	global_store_dword v[6:7], v4, off offset:1024
	s_or_b64 exec, exec, s[0:1]
	s_and_saveexec_b64 s[0:1], s[22:23]
	s_cbranch_execz .LBB73_43
.LBB73_57:
	v_add_co_u32_e32 v6, vcc, 0x2000, v0
	s_nop 1
	v_addc_co_u32_e32 v7, vcc, 0, v1, vcc
	global_store_dword v[6:7], v5, off offset:2048
	s_or_b64 exec, exec, s[0:1]
	s_and_saveexec_b64 s[0:1], s[24:25]
	s_cbranch_execz .LBB73_44
.LBB73_58:
	v_add_co_u32_e32 v4, vcc, 0x2000, v0
	s_nop 1
	v_addc_co_u32_e32 v5, vcc, 0, v1, vcc
	global_store_dword v[4:5], v2, off offset:3072
	s_or_b64 exec, exec, s[0:1]
	s_and_saveexec_b64 s[0:1], s[26:27]
	s_cbranch_execz .LBB73_45
.LBB73_59:
	v_add_co_u32_e32 v4, vcc, 0x3000, v0
	s_nop 1
	v_addc_co_u32_e32 v5, vcc, 0, v1, vcc
	global_store_dword v[4:5], v3, off
	s_or_b64 exec, exec, s[0:1]
	s_and_saveexec_b64 s[0:1], s[28:29]
	s_cbranch_execz .LBB73_46
.LBB73_60:
	v_add_co_u32_e32 v0, vcc, 0x3000, v0
	s_nop 1
	v_addc_co_u32_e32 v1, vcc, 0, v1, vcc
	global_store_dword v[0:1], v14, off offset:1024
	s_endpgm
	.section	.rodata,"a",@progbits
	.p2align	6, 0x0
	.amdhsa_kernel _ZN7rocprim17ROCPRIM_304000_NS6detail18single_scan_kernelILb0ENS1_19wrapped_scan_configINS0_14default_configEfEEPKfPfSt4plusIfEffEEvT1_mT4_T2_T3_
		.amdhsa_group_segment_fixed_size 14336
		.amdhsa_private_segment_fixed_size 0
		.amdhsa_kernarg_size 36
		.amdhsa_user_sgpr_count 2
		.amdhsa_user_sgpr_dispatch_ptr 0
		.amdhsa_user_sgpr_queue_ptr 0
		.amdhsa_user_sgpr_kernarg_segment_ptr 1
		.amdhsa_user_sgpr_dispatch_id 0
		.amdhsa_user_sgpr_kernarg_preload_length 0
		.amdhsa_user_sgpr_kernarg_preload_offset 0
		.amdhsa_user_sgpr_private_segment_size 0
		.amdhsa_uses_dynamic_stack 0
		.amdhsa_enable_private_segment 0
		.amdhsa_system_sgpr_workgroup_id_x 1
		.amdhsa_system_sgpr_workgroup_id_y 0
		.amdhsa_system_sgpr_workgroup_id_z 0
		.amdhsa_system_sgpr_workgroup_info 0
		.amdhsa_system_vgpr_workitem_id 0
		.amdhsa_next_free_vgpr 38
		.amdhsa_next_free_sgpr 32
		.amdhsa_accum_offset 40
		.amdhsa_reserve_vcc 1
		.amdhsa_float_round_mode_32 0
		.amdhsa_float_round_mode_16_64 0
		.amdhsa_float_denorm_mode_32 3
		.amdhsa_float_denorm_mode_16_64 3
		.amdhsa_dx10_clamp 1
		.amdhsa_ieee_mode 1
		.amdhsa_fp16_overflow 0
		.amdhsa_tg_split 0
		.amdhsa_exception_fp_ieee_invalid_op 0
		.amdhsa_exception_fp_denorm_src 0
		.amdhsa_exception_fp_ieee_div_zero 0
		.amdhsa_exception_fp_ieee_overflow 0
		.amdhsa_exception_fp_ieee_underflow 0
		.amdhsa_exception_fp_ieee_inexact 0
		.amdhsa_exception_int_div_zero 0
	.end_amdhsa_kernel
	.section	.text._ZN7rocprim17ROCPRIM_304000_NS6detail18single_scan_kernelILb0ENS1_19wrapped_scan_configINS0_14default_configEfEEPKfPfSt4plusIfEffEEvT1_mT4_T2_T3_,"axG",@progbits,_ZN7rocprim17ROCPRIM_304000_NS6detail18single_scan_kernelILb0ENS1_19wrapped_scan_configINS0_14default_configEfEEPKfPfSt4plusIfEffEEvT1_mT4_T2_T3_,comdat
.Lfunc_end73:
	.size	_ZN7rocprim17ROCPRIM_304000_NS6detail18single_scan_kernelILb0ENS1_19wrapped_scan_configINS0_14default_configEfEEPKfPfSt4plusIfEffEEvT1_mT4_T2_T3_, .Lfunc_end73-_ZN7rocprim17ROCPRIM_304000_NS6detail18single_scan_kernelILb0ENS1_19wrapped_scan_configINS0_14default_configEfEEPKfPfSt4plusIfEffEEvT1_mT4_T2_T3_
                                        ; -- End function
	.set _ZN7rocprim17ROCPRIM_304000_NS6detail18single_scan_kernelILb0ENS1_19wrapped_scan_configINS0_14default_configEfEEPKfPfSt4plusIfEffEEvT1_mT4_T2_T3_.num_vgpr, 38
	.set _ZN7rocprim17ROCPRIM_304000_NS6detail18single_scan_kernelILb0ENS1_19wrapped_scan_configINS0_14default_configEfEEPKfPfSt4plusIfEffEEvT1_mT4_T2_T3_.num_agpr, 0
	.set _ZN7rocprim17ROCPRIM_304000_NS6detail18single_scan_kernelILb0ENS1_19wrapped_scan_configINS0_14default_configEfEEPKfPfSt4plusIfEffEEvT1_mT4_T2_T3_.numbered_sgpr, 32
	.set _ZN7rocprim17ROCPRIM_304000_NS6detail18single_scan_kernelILb0ENS1_19wrapped_scan_configINS0_14default_configEfEEPKfPfSt4plusIfEffEEvT1_mT4_T2_T3_.num_named_barrier, 0
	.set _ZN7rocprim17ROCPRIM_304000_NS6detail18single_scan_kernelILb0ENS1_19wrapped_scan_configINS0_14default_configEfEEPKfPfSt4plusIfEffEEvT1_mT4_T2_T3_.private_seg_size, 0
	.set _ZN7rocprim17ROCPRIM_304000_NS6detail18single_scan_kernelILb0ENS1_19wrapped_scan_configINS0_14default_configEfEEPKfPfSt4plusIfEffEEvT1_mT4_T2_T3_.uses_vcc, 1
	.set _ZN7rocprim17ROCPRIM_304000_NS6detail18single_scan_kernelILb0ENS1_19wrapped_scan_configINS0_14default_configEfEEPKfPfSt4plusIfEffEEvT1_mT4_T2_T3_.uses_flat_scratch, 0
	.set _ZN7rocprim17ROCPRIM_304000_NS6detail18single_scan_kernelILb0ENS1_19wrapped_scan_configINS0_14default_configEfEEPKfPfSt4plusIfEffEEvT1_mT4_T2_T3_.has_dyn_sized_stack, 0
	.set _ZN7rocprim17ROCPRIM_304000_NS6detail18single_scan_kernelILb0ENS1_19wrapped_scan_configINS0_14default_configEfEEPKfPfSt4plusIfEffEEvT1_mT4_T2_T3_.has_recursion, 0
	.set _ZN7rocprim17ROCPRIM_304000_NS6detail18single_scan_kernelILb0ENS1_19wrapped_scan_configINS0_14default_configEfEEPKfPfSt4plusIfEffEEvT1_mT4_T2_T3_.has_indirect_call, 0
	.section	.AMDGPU.csdata,"",@progbits
; Kernel info:
; codeLenInByte = 2216
; TotalNumSgprs: 38
; NumVgprs: 38
; NumAgprs: 0
; TotalNumVgprs: 38
; ScratchSize: 0
; MemoryBound: 0
; FloatMode: 240
; IeeeMode: 1
; LDSByteSize: 14336 bytes/workgroup (compile time only)
; SGPRBlocks: 4
; VGPRBlocks: 4
; NumSGPRsForWavesPerEU: 38
; NumVGPRsForWavesPerEU: 38
; AccumOffset: 40
; Occupancy: 8
; WaveLimiterHint : 0
; COMPUTE_PGM_RSRC2:SCRATCH_EN: 0
; COMPUTE_PGM_RSRC2:USER_SGPR: 2
; COMPUTE_PGM_RSRC2:TRAP_HANDLER: 0
; COMPUTE_PGM_RSRC2:TGID_X_EN: 1
; COMPUTE_PGM_RSRC2:TGID_Y_EN: 0
; COMPUTE_PGM_RSRC2:TGID_Z_EN: 0
; COMPUTE_PGM_RSRC2:TIDIG_COMP_CNT: 0
; COMPUTE_PGM_RSRC3_GFX90A:ACCUM_OFFSET: 9
; COMPUTE_PGM_RSRC3_GFX90A:TG_SPLIT: 0
	.section	.text._ZN2at6native32tensor_kernel_scan_innermost_dimIfSt4plusIfEEEvPT_PKS4_jjjS4_T0_,"axG",@progbits,_ZN2at6native32tensor_kernel_scan_innermost_dimIfSt4plusIfEEEvPT_PKS4_jjjS4_T0_,comdat
	.protected	_ZN2at6native32tensor_kernel_scan_innermost_dimIfSt4plusIfEEEvPT_PKS4_jjjS4_T0_ ; -- Begin function _ZN2at6native32tensor_kernel_scan_innermost_dimIfSt4plusIfEEEvPT_PKS4_jjjS4_T0_
	.globl	_ZN2at6native32tensor_kernel_scan_innermost_dimIfSt4plusIfEEEvPT_PKS4_jjjS4_T0_
	.p2align	8
	.type	_ZN2at6native32tensor_kernel_scan_innermost_dimIfSt4plusIfEEEvPT_PKS4_jjjS4_T0_,@function
_ZN2at6native32tensor_kernel_scan_innermost_dimIfSt4plusIfEEEvPT_PKS4_jjjS4_T0_: ; @_ZN2at6native32tensor_kernel_scan_innermost_dimIfSt4plusIfEEEvPT_PKS4_jjjS4_T0_
; %bb.0:
	s_load_dwordx8 s[12:19], s[0:1], 0x0
	v_bfe_u32 v2, v0, 10, 10
	s_waitcnt lgkmcnt(0)
	s_lshl_b32 s3, 2, s18
	s_mul_hi_u32 s4, s16, s17
	v_mul_lo_u32 v1, s3, v2
	v_lshl_add_u32 v18, v1, 2, 0
	s_cmp_lg_u32 s4, 0
	s_mov_b64 s[4:5], -1
	s_cbranch_scc1 .LBB74_26
; %bb.1:
	s_load_dword s6, s[0:1], 0x34
	s_add_u32 s4, s0, 40
	s_addc_u32 s5, s1, 0
	s_waitcnt lgkmcnt(0)
	s_lshr_b32 s6, s6, 16
	s_mul_i32 s24, s2, s6
	s_cmp_ge_u32 s24, s16
	s_cbranch_scc1 .LBB74_25
; %bb.2:
	s_load_dword s26, s[4:5], 0x0
	s_lshl_b32 s25, 1, s18
	s_cmp_lg_u32 s17, 0
	s_cselect_b64 s[10:11], -1, 0
	v_and_b32_e32 v1, 0x3ff, v0
	v_lshl_add_u32 v3, v1, 2, v18
	s_lshl_b32 s4, s3, 2
	v_cndmask_b32_e64 v4, 0, 1, s[10:11]
	v_lshl_add_u32 v12, s25, 2, v3
	v_cmp_eq_u32_e64 s[8:9], 0, v1
	v_add3_u32 v13, v18, s4, -4
	s_waitcnt lgkmcnt(0)
	s_mul_i32 s26, s26, s6
	s_add_i32 s27, s18, 1
	v_cmp_ne_u32_e64 s[4:5], 1, v4
	v_mov_b32_e32 v5, 0
	s_branch .LBB74_4
.LBB74_3:                               ;   in Loop: Header=BB74_4 Depth=1
	s_add_i32 s24, s24, s26
	s_cmp_ge_u32 s24, s16
	s_cbranch_scc1 .LBB74_25
.LBB74_4:                               ; =>This Loop Header: Depth=1
                                        ;     Child Loop BB74_7 Depth 2
                                        ;       Child Loop BB74_16 Depth 3
	s_and_b64 vcc, exec, s[4:5]
	s_cbranch_vccnz .LBB74_3
; %bb.5:                                ;   in Loop: Header=BB74_4 Depth=1
	v_add_u32_e32 v10, s24, v2
	v_mul_lo_u32 v4, v10, s17
	v_lshlrev_b64 v[8:9], 2, v[4:5]
	v_lshl_add_u64 v[6:7], s[14:15], 0, v[8:9]
	v_lshl_add_u64 v[8:9], s[12:13], 0, v[8:9]
	v_cmp_gt_u32_e32 vcc, s16, v10
	v_cmp_le_u32_e64 s[6:7], s16, v10
	s_mov_b32 s28, 0
	v_mov_b32_e32 v14, s19
	s_branch .LBB74_7
.LBB74_6:                               ;   in Loop: Header=BB74_7 Depth=2
	s_or_b64 exec, exec, s[20:21]
	ds_read_b32 v14, v13
	s_add_i32 s28, s28, s3
	s_cmp_ge_u32 s28, s17
	s_waitcnt lgkmcnt(0)
	s_barrier
	s_cbranch_scc1 .LBB74_3
.LBB74_7:                               ;   Parent Loop BB74_4 Depth=1
                                        ; =>  This Loop Header: Depth=2
                                        ;       Child Loop BB74_16 Depth 3
	v_add_u32_e32 v4, s28, v1
	v_add_u32_e32 v10, s25, v4
	s_and_saveexec_b64 s[20:21], vcc
	s_cbranch_execz .LBB74_14
; %bb.8:                                ;   in Loop: Header=BB74_7 Depth=2
	v_cmp_gt_u32_e64 s[10:11], s17, v4
	v_mov_b32_e32 v11, s19
	s_and_saveexec_b64 s[22:23], s[10:11]
	s_cbranch_execz .LBB74_10
; %bb.9:                                ;   in Loop: Header=BB74_7 Depth=2
	v_lshl_add_u64 v[16:17], v[4:5], 2, v[6:7]
	global_load_dword v11, v[16:17], off
.LBB74_10:                              ;   in Loop: Header=BB74_7 Depth=2
	s_or_b64 exec, exec, s[22:23]
	s_waitcnt vmcnt(0)
	ds_write_b32 v3, v11
	v_cmp_gt_u32_e64 s[10:11], s17, v10
	v_mov_b32_e32 v11, s19
	s_and_saveexec_b64 s[22:23], s[10:11]
	s_cbranch_execz .LBB74_12
; %bb.11:                               ;   in Loop: Header=BB74_7 Depth=2
	v_mov_b32_e32 v11, v5
	v_lshl_add_u64 v[16:17], v[10:11], 2, v[6:7]
	global_load_dword v11, v[16:17], off
.LBB74_12:                              ;   in Loop: Header=BB74_7 Depth=2
	s_or_b64 exec, exec, s[22:23]
	s_waitcnt vmcnt(0)
	ds_write_b32 v12, v11
	s_and_b64 exec, exec, s[8:9]
	s_cbranch_execz .LBB74_14
; %bb.13:                               ;   in Loop: Header=BB74_7 Depth=2
	ds_read_b32 v11, v18
	s_waitcnt lgkmcnt(0)
	v_add_f32_e32 v11, v14, v11
	ds_write_b32 v18, v11
.LBB74_14:                              ;   in Loop: Header=BB74_7 Depth=2
	s_or_b64 exec, exec, s[20:21]
	v_mov_b32_e32 v11, 0
	s_mov_b64 s[20:21], 0
	s_waitcnt lgkmcnt(0)
	s_barrier
	s_branch .LBB74_16
.LBB74_15:                              ;   in Loop: Header=BB74_16 Depth=3
	s_or_b64 exec, exec, s[10:11]
	v_cmp_eq_u32_e64 s[10:11], s27, v11
	s_or_b64 s[20:21], s[10:11], s[20:21]
	s_waitcnt lgkmcnt(0)
	s_barrier
	s_andn2_b64 exec, exec, s[20:21]
	s_cbranch_execz .LBB74_20
.LBB74_16:                              ;   Parent Loop BB74_4 Depth=1
                                        ;     Parent Loop BB74_7 Depth=2
                                        ; =>    This Inner Loop Header: Depth=3
	v_add_u32_e32 v14, 1, v11
	s_and_saveexec_b64 s[10:11], s[6:7]
	s_xor_b64 s[10:11], exec, s[10:11]
; %bb.17:                               ;   in Loop: Header=BB74_16 Depth=3
	v_add_u32_e32 v11, 1, v11
                                        ; implicit-def: $vgpr14
; %bb.18:                               ;   in Loop: Header=BB74_16 Depth=3
	s_andn2_saveexec_b64 s[10:11], s[10:11]
	s_cbranch_execz .LBB74_15
; %bb.19:                               ;   in Loop: Header=BB74_16 Depth=3
	v_lshlrev_b32_e64 v15, v11, 1
	v_lshrrev_b32_e32 v16, v11, v1
	v_lshl_or_b32 v15, v16, v14, v15
	v_bfm_b32 v11, v11, 0
	v_and_b32_e32 v11, v11, v1
	v_lshl_add_u32 v15, v15, 2, v18
	v_lshl_add_u32 v11, v11, 2, v15
	v_add_u32_e32 v15, -4, v15
	ds_read_b32 v16, v11
	ds_read_b32 v15, v15
	s_waitcnt lgkmcnt(0)
	v_add_f32_e32 v15, v16, v15
	ds_write_b32 v11, v15
	v_mov_b32_e32 v11, v14
	s_branch .LBB74_15
.LBB74_20:                              ;   in Loop: Header=BB74_7 Depth=2
	s_or_b64 exec, exec, s[20:21]
	s_and_saveexec_b64 s[20:21], vcc
	s_cbranch_execz .LBB74_6
; %bb.21:                               ;   in Loop: Header=BB74_7 Depth=2
	v_cmp_gt_u32_e64 s[10:11], s17, v4
	s_and_saveexec_b64 s[22:23], s[10:11]
	s_cbranch_execz .LBB74_23
; %bb.22:                               ;   in Loop: Header=BB74_7 Depth=2
	ds_read_b32 v11, v3
	v_lshl_add_u64 v[14:15], v[4:5], 2, v[8:9]
	s_waitcnt lgkmcnt(0)
	global_store_dword v[14:15], v11, off
.LBB74_23:                              ;   in Loop: Header=BB74_7 Depth=2
	s_or_b64 exec, exec, s[22:23]
	v_cmp_gt_u32_e64 s[10:11], s17, v10
	s_and_b64 exec, exec, s[10:11]
	s_cbranch_execz .LBB74_6
; %bb.24:                               ;   in Loop: Header=BB74_7 Depth=2
	ds_read_b32 v4, v12
	v_mov_b32_e32 v11, v5
	v_lshl_add_u64 v[10:11], v[10:11], 2, v[8:9]
	s_waitcnt lgkmcnt(0)
	global_store_dword v[10:11], v4, off
	s_branch .LBB74_6
.LBB74_25:
	s_mov_b64 s[4:5], 0
.LBB74_26:
	s_andn2_b64 vcc, exec, s[4:5]
	s_cbranch_vccnz .LBB74_53
; %bb.27:
	s_load_dword s3, s[0:1], 0x34
	s_add_u32 s0, s0, 40
	s_mov_b32 s9, 0
	s_addc_u32 s1, s1, 0
	s_mov_b32 s8, s16
	s_waitcnt lgkmcnt(0)
	s_lshr_b32 s3, s3, 16
	s_mul_hi_u32 s11, s3, s2
	s_mul_i32 s10, s3, s2
	v_mov_b64_e32 v[4:5], s[8:9]
	v_cmp_ge_u64_e32 vcc, s[10:11], v[4:5]
	s_cbranch_vccnz .LBB74_53
; %bb.28:
	s_lshl_b32 s20, 1, s18
	s_load_dword s5, s[0:1], 0x0
	s_and_b32 s4, 0xffff, s3
	s_ashr_i32 s21, s20, 31
	s_cmp_lg_u32 s17, 0
	s_mov_b32 s22, s17
	s_cselect_b64 s[2:3], -1, 0
	v_and_b32_e32 v0, 0x3ff, v0
	s_lshl_b64 s[16:17], s[20:21], 1
	v_mov_b32_e32 v3, 0
	v_lshl_add_u32 v19, v0, 2, v18
	s_lshl_b32 s6, s16, 2
	v_cndmask_b32_e64 v4, 0, 1, s[2:3]
	s_mov_b32 s23, s9
	v_mov_b32_e32 v1, v3
	v_lshl_add_u32 v20, s20, 2, v19
	v_cmp_eq_u32_e64 s[0:1], 0, v0
	v_add3_u32 v21, v18, s6, -4
	s_waitcnt lgkmcnt(0)
	s_mul_i32 s33, s5, s4
	s_add_i32 s18, s18, 1
	v_cmp_ne_u32_e64 s[2:3], 1, v4
	v_mov_b64_e32 v[4:5], s[8:9]
	s_branch .LBB74_30
.LBB74_29:                              ;   in Loop: Header=BB74_30 Depth=1
	s_add_u32 s10, s10, s33
	s_addc_u32 s11, s11, 0
	v_cmp_ge_u64_e32 vcc, s[10:11], v[4:5]
	s_cbranch_vccnz .LBB74_53
.LBB74_30:                              ; =>This Loop Header: Depth=1
                                        ;     Child Loop BB74_33 Depth 2
                                        ;       Child Loop BB74_43 Depth 3
	s_and_b64 vcc, exec, s[2:3]
	s_cbranch_vccnz .LBB74_29
; %bb.31:                               ;   in Loop: Header=BB74_30 Depth=1
	v_lshl_add_u64 v[10:11], s[10:11], 0, v[2:3]
	v_mad_u64_u32 v[6:7], s[4:5], v10, s22, 0
	v_mov_b32_e32 v8, v7
	v_mad_u64_u32 v[8:9], s[4:5], v11, s22, v[8:9]
	v_mov_b32_e32 v7, v8
	v_lshlrev_b64 v[8:9], 2, v[6:7]
	v_lshl_add_u64 v[6:7], s[14:15], 0, v[8:9]
	v_lshl_add_u64 v[8:9], s[12:13], 0, v[8:9]
	v_cmp_gt_u64_e64 s[4:5], s[8:9], v[10:11]
	v_cmp_le_u64_e64 s[6:7], s[8:9], v[10:11]
	s_mov_b64 s[24:25], 0
	v_mov_b32_e32 v14, s19
	s_branch .LBB74_33
.LBB74_32:                              ;   in Loop: Header=BB74_33 Depth=2
	s_or_b64 exec, exec, s[26:27]
	ds_read_b32 v14, v21
	s_add_u32 s24, s24, s16
	s_addc_u32 s25, s25, s17
	v_mov_b64_e32 v[10:11], s[22:23]
	v_cmp_ge_u64_e32 vcc, s[24:25], v[10:11]
	s_waitcnt lgkmcnt(0)
	s_barrier
	s_cbranch_vccnz .LBB74_29
.LBB74_33:                              ;   Parent Loop BB74_30 Depth=1
                                        ; =>  This Loop Header: Depth=2
                                        ;       Child Loop BB74_43 Depth 3
	v_lshl_add_u64 v[12:13], s[24:25], 0, v[0:1]
	v_lshl_add_u64 v[10:11], v[12:13], 0, s[20:21]
	s_and_saveexec_b64 s[26:27], s[4:5]
	s_cbranch_execz .LBB74_40
; %bb.34:                               ;   in Loop: Header=BB74_33 Depth=2
	v_cmp_gt_u64_e32 vcc, s[22:23], v[12:13]
	v_mov_b32_e32 v15, s19
	s_and_saveexec_b64 s[28:29], vcc
	s_cbranch_execz .LBB74_36
; %bb.35:                               ;   in Loop: Header=BB74_33 Depth=2
	v_lshl_add_u64 v[16:17], v[12:13], 2, v[6:7]
	global_load_dword v15, v[16:17], off
.LBB74_36:                              ;   in Loop: Header=BB74_33 Depth=2
	s_or_b64 exec, exec, s[28:29]
	s_waitcnt vmcnt(0)
	ds_write_b32 v19, v15
	v_cmp_gt_u64_e32 vcc, s[22:23], v[10:11]
	v_mov_b32_e32 v15, s19
	s_and_saveexec_b64 s[28:29], vcc
	s_cbranch_execz .LBB74_38
; %bb.37:                               ;   in Loop: Header=BB74_33 Depth=2
	v_lshl_add_u64 v[16:17], v[10:11], 2, v[6:7]
	global_load_dword v15, v[16:17], off
.LBB74_38:                              ;   in Loop: Header=BB74_33 Depth=2
	s_or_b64 exec, exec, s[28:29]
	s_waitcnt vmcnt(0)
	ds_write_b32 v20, v15
	s_and_b64 exec, exec, s[0:1]
	s_cbranch_execz .LBB74_40
; %bb.39:                               ;   in Loop: Header=BB74_33 Depth=2
	ds_read_b32 v15, v18
	s_waitcnt lgkmcnt(0)
	v_add_f32_e32 v14, v14, v15
	ds_write_b32 v18, v14
.LBB74_40:                              ;   in Loop: Header=BB74_33 Depth=2
	s_or_b64 exec, exec, s[26:27]
	v_mov_b32_e32 v23, 0
	s_mov_b64 s[26:27], 0
	s_waitcnt lgkmcnt(0)
	s_barrier
	s_branch .LBB74_43
.LBB74_41:                              ;   in Loop: Header=BB74_43 Depth=3
	s_or_b64 exec, exec, s[30:31]
	v_lshrrev_b32_e32 v15, v23, v0
	v_lshl_or_b32 v14, v15, v22, v14
	v_lshl_add_u32 v14, v14, 2, v18
	v_lshl_add_u32 v15, v16, 2, v14
	v_add_u32_e32 v14, -4, v14
	ds_read_b32 v16, v15
	ds_read_b32 v14, v14
	s_waitcnt lgkmcnt(0)
	v_add_f32_e32 v14, v16, v14
	ds_write_b32 v15, v14
.LBB74_42:                              ;   in Loop: Header=BB74_43 Depth=3
	s_or_b64 exec, exec, s[28:29]
	v_cmp_eq_u32_e32 vcc, s18, v22
	s_or_b64 s[26:27], vcc, s[26:27]
	v_mov_b32_e32 v23, v22
	s_waitcnt lgkmcnt(0)
	s_barrier
	s_andn2_b64 exec, exec, s[26:27]
	s_cbranch_execz .LBB74_48
.LBB74_43:                              ;   Parent Loop BB74_30 Depth=1
                                        ;     Parent Loop BB74_33 Depth=2
                                        ; =>    This Inner Loop Header: Depth=3
	v_add_u32_e32 v22, 1, v23
	s_and_saveexec_b64 s[28:29], s[6:7]
	s_xor_b64 s[28:29], exec, s[28:29]
; %bb.44:                               ;   in Loop: Header=BB74_43 Depth=3
	v_add_u32_e32 v22, 1, v23
                                        ; implicit-def: $vgpr23
; %bb.45:                               ;   in Loop: Header=BB74_43 Depth=3
	s_andn2_saveexec_b64 s[28:29], s[28:29]
	s_cbranch_execz .LBB74_42
; %bb.46:                               ;   in Loop: Header=BB74_43 Depth=3
	v_lshlrev_b32_e64 v14, v23, 1
	v_ashrrev_i32_e32 v15, 31, v14
	v_cmp_ge_u64_e32 vcc, v[0:1], v[14:15]
	v_mov_b64_e32 v[16:17], v[0:1]
	s_and_saveexec_b64 s[30:31], vcc
	s_cbranch_execz .LBB74_41
; %bb.47:                               ;   in Loop: Header=BB74_43 Depth=3
	v_cvt_f32_u32_e32 v15, v14
	v_sub_u32_e32 v16, 0, v14
	v_rcp_iflag_f32_e32 v15, v15
	s_nop 0
	v_mul_f32_e32 v15, 0x4f7ffffe, v15
	v_cvt_u32_f32_e32 v15, v15
	v_mul_lo_u32 v16, v16, v15
	v_mul_hi_u32 v16, v15, v16
	v_add_u32_e32 v15, v15, v16
	v_mul_hi_u32 v15, v0, v15
	v_mul_lo_u32 v15, v15, v14
	v_sub_u32_e32 v15, v0, v15
	v_sub_u32_e32 v16, v15, v14
	v_cmp_ge_u32_e32 vcc, v15, v14
	s_nop 1
	v_cndmask_b32_e32 v15, v15, v16, vcc
	v_sub_u32_e32 v16, v15, v14
	v_cmp_ge_u32_e32 vcc, v15, v14
	s_nop 1
	v_cndmask_b32_e32 v16, v15, v16, vcc
	s_branch .LBB74_41
.LBB74_48:                              ;   in Loop: Header=BB74_33 Depth=2
	s_or_b64 exec, exec, s[26:27]
	s_and_saveexec_b64 s[26:27], s[4:5]
	s_cbranch_execz .LBB74_32
; %bb.49:                               ;   in Loop: Header=BB74_33 Depth=2
	v_cmp_gt_u64_e32 vcc, s[22:23], v[12:13]
	s_and_saveexec_b64 s[28:29], vcc
	s_cbranch_execz .LBB74_51
; %bb.50:                               ;   in Loop: Header=BB74_33 Depth=2
	ds_read_b32 v14, v19
	v_lshl_add_u64 v[12:13], v[12:13], 2, v[8:9]
	s_waitcnt lgkmcnt(0)
	global_store_dword v[12:13], v14, off
.LBB74_51:                              ;   in Loop: Header=BB74_33 Depth=2
	s_or_b64 exec, exec, s[28:29]
	v_cmp_gt_u64_e32 vcc, s[22:23], v[10:11]
	s_and_b64 exec, exec, vcc
	s_cbranch_execz .LBB74_32
; %bb.52:                               ;   in Loop: Header=BB74_33 Depth=2
	ds_read_b32 v12, v20
	v_lshl_add_u64 v[10:11], v[10:11], 2, v[8:9]
	s_waitcnt lgkmcnt(0)
	global_store_dword v[10:11], v12, off
	s_branch .LBB74_32
.LBB74_53:
	s_endpgm
	.section	.rodata,"a",@progbits
	.p2align	6, 0x0
	.amdhsa_kernel _ZN2at6native32tensor_kernel_scan_innermost_dimIfSt4plusIfEEEvPT_PKS4_jjjS4_T0_
		.amdhsa_group_segment_fixed_size 0
		.amdhsa_private_segment_fixed_size 0
		.amdhsa_kernarg_size 296
		.amdhsa_user_sgpr_count 2
		.amdhsa_user_sgpr_dispatch_ptr 0
		.amdhsa_user_sgpr_queue_ptr 0
		.amdhsa_user_sgpr_kernarg_segment_ptr 1
		.amdhsa_user_sgpr_dispatch_id 0
		.amdhsa_user_sgpr_kernarg_preload_length 0
		.amdhsa_user_sgpr_kernarg_preload_offset 0
		.amdhsa_user_sgpr_private_segment_size 0
		.amdhsa_uses_dynamic_stack 0
		.amdhsa_enable_private_segment 0
		.amdhsa_system_sgpr_workgroup_id_x 1
		.amdhsa_system_sgpr_workgroup_id_y 0
		.amdhsa_system_sgpr_workgroup_id_z 0
		.amdhsa_system_sgpr_workgroup_info 0
		.amdhsa_system_vgpr_workitem_id 1
		.amdhsa_next_free_vgpr 24
		.amdhsa_next_free_sgpr 34
		.amdhsa_accum_offset 24
		.amdhsa_reserve_vcc 1
		.amdhsa_float_round_mode_32 0
		.amdhsa_float_round_mode_16_64 0
		.amdhsa_float_denorm_mode_32 3
		.amdhsa_float_denorm_mode_16_64 3
		.amdhsa_dx10_clamp 1
		.amdhsa_ieee_mode 1
		.amdhsa_fp16_overflow 0
		.amdhsa_tg_split 0
		.amdhsa_exception_fp_ieee_invalid_op 0
		.amdhsa_exception_fp_denorm_src 0
		.amdhsa_exception_fp_ieee_div_zero 0
		.amdhsa_exception_fp_ieee_overflow 0
		.amdhsa_exception_fp_ieee_underflow 0
		.amdhsa_exception_fp_ieee_inexact 0
		.amdhsa_exception_int_div_zero 0
	.end_amdhsa_kernel
	.section	.text._ZN2at6native32tensor_kernel_scan_innermost_dimIfSt4plusIfEEEvPT_PKS4_jjjS4_T0_,"axG",@progbits,_ZN2at6native32tensor_kernel_scan_innermost_dimIfSt4plusIfEEEvPT_PKS4_jjjS4_T0_,comdat
.Lfunc_end74:
	.size	_ZN2at6native32tensor_kernel_scan_innermost_dimIfSt4plusIfEEEvPT_PKS4_jjjS4_T0_, .Lfunc_end74-_ZN2at6native32tensor_kernel_scan_innermost_dimIfSt4plusIfEEEvPT_PKS4_jjjS4_T0_
                                        ; -- End function
	.set _ZN2at6native32tensor_kernel_scan_innermost_dimIfSt4plusIfEEEvPT_PKS4_jjjS4_T0_.num_vgpr, 24
	.set _ZN2at6native32tensor_kernel_scan_innermost_dimIfSt4plusIfEEEvPT_PKS4_jjjS4_T0_.num_agpr, 0
	.set _ZN2at6native32tensor_kernel_scan_innermost_dimIfSt4plusIfEEEvPT_PKS4_jjjS4_T0_.numbered_sgpr, 34
	.set _ZN2at6native32tensor_kernel_scan_innermost_dimIfSt4plusIfEEEvPT_PKS4_jjjS4_T0_.num_named_barrier, 0
	.set _ZN2at6native32tensor_kernel_scan_innermost_dimIfSt4plusIfEEEvPT_PKS4_jjjS4_T0_.private_seg_size, 0
	.set _ZN2at6native32tensor_kernel_scan_innermost_dimIfSt4plusIfEEEvPT_PKS4_jjjS4_T0_.uses_vcc, 1
	.set _ZN2at6native32tensor_kernel_scan_innermost_dimIfSt4plusIfEEEvPT_PKS4_jjjS4_T0_.uses_flat_scratch, 0
	.set _ZN2at6native32tensor_kernel_scan_innermost_dimIfSt4plusIfEEEvPT_PKS4_jjjS4_T0_.has_dyn_sized_stack, 0
	.set _ZN2at6native32tensor_kernel_scan_innermost_dimIfSt4plusIfEEEvPT_PKS4_jjjS4_T0_.has_recursion, 0
	.set _ZN2at6native32tensor_kernel_scan_innermost_dimIfSt4plusIfEEEvPT_PKS4_jjjS4_T0_.has_indirect_call, 0
	.section	.AMDGPU.csdata,"",@progbits
; Kernel info:
; codeLenInByte = 1624
; TotalNumSgprs: 40
; NumVgprs: 24
; NumAgprs: 0
; TotalNumVgprs: 24
; ScratchSize: 0
; MemoryBound: 0
; FloatMode: 240
; IeeeMode: 1
; LDSByteSize: 0 bytes/workgroup (compile time only)
; SGPRBlocks: 4
; VGPRBlocks: 2
; NumSGPRsForWavesPerEU: 40
; NumVGPRsForWavesPerEU: 24
; AccumOffset: 24
; Occupancy: 8
; WaveLimiterHint : 0
; COMPUTE_PGM_RSRC2:SCRATCH_EN: 0
; COMPUTE_PGM_RSRC2:USER_SGPR: 2
; COMPUTE_PGM_RSRC2:TRAP_HANDLER: 0
; COMPUTE_PGM_RSRC2:TGID_X_EN: 1
; COMPUTE_PGM_RSRC2:TGID_Y_EN: 0
; COMPUTE_PGM_RSRC2:TGID_Z_EN: 0
; COMPUTE_PGM_RSRC2:TIDIG_COMP_CNT: 1
; COMPUTE_PGM_RSRC3_GFX90A:ACCUM_OFFSET: 5
; COMPUTE_PGM_RSRC3_GFX90A:TG_SPLIT: 0
	.section	.text._ZN2at6native28tensor_kernel_scan_outer_dimIfjSt4plusIfEEEvPT_PKS4_jjjS4_T1_,"axG",@progbits,_ZN2at6native28tensor_kernel_scan_outer_dimIfjSt4plusIfEEEvPT_PKS4_jjjS4_T1_,comdat
	.protected	_ZN2at6native28tensor_kernel_scan_outer_dimIfjSt4plusIfEEEvPT_PKS4_jjjS4_T1_ ; -- Begin function _ZN2at6native28tensor_kernel_scan_outer_dimIfjSt4plusIfEEEvPT_PKS4_jjjS4_T1_
	.globl	_ZN2at6native28tensor_kernel_scan_outer_dimIfjSt4plusIfEEEvPT_PKS4_jjjS4_T1_
	.p2align	8
	.type	_ZN2at6native28tensor_kernel_scan_outer_dimIfjSt4plusIfEEEvPT_PKS4_jjjS4_T1_,@function
_ZN2at6native28tensor_kernel_scan_outer_dimIfjSt4plusIfEEEvPT_PKS4_jjjS4_T1_: ; @_ZN2at6native28tensor_kernel_scan_outer_dimIfjSt4plusIfEEEvPT_PKS4_jjjS4_T1_
; %bb.0:
	s_load_dwordx4 s[8:11], s[0:1], 0x10
	s_waitcnt lgkmcnt(0)
	s_cmp_ge_u32 s2, s8
	s_cbranch_scc1 .LBB75_9
; %bb.1:
	s_load_dword s4, s[0:1], 0x34
	s_load_dwordx4 s[12:15], s[0:1], 0x0
	s_load_dword s26, s[0:1], 0x28
	s_add_u32 s6, s0, 40
	s_addc_u32 s7, s1, 0
	s_waitcnt lgkmcnt(0)
	s_and_b32 s27, s4, 0xffff
	s_mul_i32 s3, s3, s27
	s_cmp_lg_u32 s10, 0
	v_add_u32_e32 v4, s3, v0
	s_cselect_b64 s[4:5], -1, 0
	s_mul_i32 s3, s2, s10
	s_mov_b32 s17, 0
	s_mov_b32 s16, s9
	s_mul_i32 s20, s3, s9
	s_mul_i32 s3, s26, s10
	v_cndmask_b32_e64 v0, 0, 1, s[4:5]
	v_cmp_gt_u32_e64 s[0:1], s9, v4
	s_mul_i32 s3, s3, s9
	s_lshl_b64 s[18:19], s[16:17], 2
	v_cmp_ne_u32_e64 s[4:5], 1, v0
	v_mov_b32_e32 v1, 0
	s_mov_b32 s16, s20
	s_branch .LBB75_3
.LBB75_2:                               ;   in Loop: Header=BB75_3 Depth=1
	s_or_b64 exec, exec, s[20:21]
	s_add_i32 s2, s26, s2
	s_add_i32 s16, s16, s3
	s_cmp_ge_u32 s2, s8
	s_cbranch_scc1 .LBB75_9
.LBB75_3:                               ; =>This Loop Header: Depth=1
                                        ;     Child Loop BB75_6 Depth 2
                                        ;       Child Loop BB75_8 Depth 3
	s_and_saveexec_b64 s[20:21], s[0:1]
	s_cbranch_execz .LBB75_2
; %bb.4:                                ;   in Loop: Header=BB75_3 Depth=1
	s_load_dword s28, s[6:7], 0x4
	s_lshl_b64 s[22:23], s[16:17], 2
	s_mov_b64 s[24:25], 0
	v_mov_b32_e32 v0, v4
	s_waitcnt lgkmcnt(0)
	s_mul_i32 s28, s28, s27
	s_branch .LBB75_6
.LBB75_5:                               ;   in Loop: Header=BB75_6 Depth=2
	v_add_u32_e32 v0, s28, v0
	v_cmp_le_u32_e32 vcc, s9, v0
	s_or_b64 s[24:25], vcc, s[24:25]
	s_andn2_b64 exec, exec, s[24:25]
	s_cbranch_execz .LBB75_2
.LBB75_6:                               ;   Parent Loop BB75_3 Depth=1
                                        ; =>  This Loop Header: Depth=2
                                        ;       Child Loop BB75_8 Depth 3
	s_and_b64 vcc, exec, s[4:5]
	s_cbranch_vccnz .LBB75_5
; %bb.7:                                ;   in Loop: Header=BB75_6 Depth=2
	v_lshl_add_u64 v[2:3], v[0:1], 2, s[22:23]
	v_mov_b32_e32 v5, s11
	s_mov_b32 s29, s10
.LBB75_8:                               ;   Parent Loop BB75_3 Depth=1
                                        ;     Parent Loop BB75_6 Depth=2
                                        ; =>    This Inner Loop Header: Depth=3
	v_lshl_add_u64 v[6:7], s[14:15], 0, v[2:3]
	global_load_dword v8, v[6:7], off
	s_add_i32 s29, s29, -1
	v_lshl_add_u64 v[6:7], s[12:13], 0, v[2:3]
	v_lshl_add_u64 v[2:3], v[2:3], 0, s[18:19]
	s_cmp_eq_u32 s29, 0
	s_waitcnt vmcnt(0)
	v_add_f32_e32 v5, v5, v8
	global_store_dword v[6:7], v5, off
	s_cbranch_scc0 .LBB75_8
	s_branch .LBB75_5
.LBB75_9:
	s_endpgm
	.section	.rodata,"a",@progbits
	.p2align	6, 0x0
	.amdhsa_kernel _ZN2at6native28tensor_kernel_scan_outer_dimIfjSt4plusIfEEEvPT_PKS4_jjjS4_T1_
		.amdhsa_group_segment_fixed_size 0
		.amdhsa_private_segment_fixed_size 0
		.amdhsa_kernarg_size 296
		.amdhsa_user_sgpr_count 2
		.amdhsa_user_sgpr_dispatch_ptr 0
		.amdhsa_user_sgpr_queue_ptr 0
		.amdhsa_user_sgpr_kernarg_segment_ptr 1
		.amdhsa_user_sgpr_dispatch_id 0
		.amdhsa_user_sgpr_kernarg_preload_length 0
		.amdhsa_user_sgpr_kernarg_preload_offset 0
		.amdhsa_user_sgpr_private_segment_size 0
		.amdhsa_uses_dynamic_stack 0
		.amdhsa_enable_private_segment 0
		.amdhsa_system_sgpr_workgroup_id_x 1
		.amdhsa_system_sgpr_workgroup_id_y 1
		.amdhsa_system_sgpr_workgroup_id_z 0
		.amdhsa_system_sgpr_workgroup_info 0
		.amdhsa_system_vgpr_workitem_id 0
		.amdhsa_next_free_vgpr 9
		.amdhsa_next_free_sgpr 30
		.amdhsa_accum_offset 12
		.amdhsa_reserve_vcc 1
		.amdhsa_float_round_mode_32 0
		.amdhsa_float_round_mode_16_64 0
		.amdhsa_float_denorm_mode_32 3
		.amdhsa_float_denorm_mode_16_64 3
		.amdhsa_dx10_clamp 1
		.amdhsa_ieee_mode 1
		.amdhsa_fp16_overflow 0
		.amdhsa_tg_split 0
		.amdhsa_exception_fp_ieee_invalid_op 0
		.amdhsa_exception_fp_denorm_src 0
		.amdhsa_exception_fp_ieee_div_zero 0
		.amdhsa_exception_fp_ieee_overflow 0
		.amdhsa_exception_fp_ieee_underflow 0
		.amdhsa_exception_fp_ieee_inexact 0
		.amdhsa_exception_int_div_zero 0
	.end_amdhsa_kernel
	.section	.text._ZN2at6native28tensor_kernel_scan_outer_dimIfjSt4plusIfEEEvPT_PKS4_jjjS4_T1_,"axG",@progbits,_ZN2at6native28tensor_kernel_scan_outer_dimIfjSt4plusIfEEEvPT_PKS4_jjjS4_T1_,comdat
.Lfunc_end75:
	.size	_ZN2at6native28tensor_kernel_scan_outer_dimIfjSt4plusIfEEEvPT_PKS4_jjjS4_T1_, .Lfunc_end75-_ZN2at6native28tensor_kernel_scan_outer_dimIfjSt4plusIfEEEvPT_PKS4_jjjS4_T1_
                                        ; -- End function
	.set _ZN2at6native28tensor_kernel_scan_outer_dimIfjSt4plusIfEEEvPT_PKS4_jjjS4_T1_.num_vgpr, 9
	.set _ZN2at6native28tensor_kernel_scan_outer_dimIfjSt4plusIfEEEvPT_PKS4_jjjS4_T1_.num_agpr, 0
	.set _ZN2at6native28tensor_kernel_scan_outer_dimIfjSt4plusIfEEEvPT_PKS4_jjjS4_T1_.numbered_sgpr, 30
	.set _ZN2at6native28tensor_kernel_scan_outer_dimIfjSt4plusIfEEEvPT_PKS4_jjjS4_T1_.num_named_barrier, 0
	.set _ZN2at6native28tensor_kernel_scan_outer_dimIfjSt4plusIfEEEvPT_PKS4_jjjS4_T1_.private_seg_size, 0
	.set _ZN2at6native28tensor_kernel_scan_outer_dimIfjSt4plusIfEEEvPT_PKS4_jjjS4_T1_.uses_vcc, 1
	.set _ZN2at6native28tensor_kernel_scan_outer_dimIfjSt4plusIfEEEvPT_PKS4_jjjS4_T1_.uses_flat_scratch, 0
	.set _ZN2at6native28tensor_kernel_scan_outer_dimIfjSt4plusIfEEEvPT_PKS4_jjjS4_T1_.has_dyn_sized_stack, 0
	.set _ZN2at6native28tensor_kernel_scan_outer_dimIfjSt4plusIfEEEvPT_PKS4_jjjS4_T1_.has_recursion, 0
	.set _ZN2at6native28tensor_kernel_scan_outer_dimIfjSt4plusIfEEEvPT_PKS4_jjjS4_T1_.has_indirect_call, 0
	.section	.AMDGPU.csdata,"",@progbits
; Kernel info:
; codeLenInByte = 316
; TotalNumSgprs: 36
; NumVgprs: 9
; NumAgprs: 0
; TotalNumVgprs: 9
; ScratchSize: 0
; MemoryBound: 0
; FloatMode: 240
; IeeeMode: 1
; LDSByteSize: 0 bytes/workgroup (compile time only)
; SGPRBlocks: 4
; VGPRBlocks: 1
; NumSGPRsForWavesPerEU: 36
; NumVGPRsForWavesPerEU: 9
; AccumOffset: 12
; Occupancy: 8
; WaveLimiterHint : 0
; COMPUTE_PGM_RSRC2:SCRATCH_EN: 0
; COMPUTE_PGM_RSRC2:USER_SGPR: 2
; COMPUTE_PGM_RSRC2:TRAP_HANDLER: 0
; COMPUTE_PGM_RSRC2:TGID_X_EN: 1
; COMPUTE_PGM_RSRC2:TGID_Y_EN: 1
; COMPUTE_PGM_RSRC2:TGID_Z_EN: 0
; COMPUTE_PGM_RSRC2:TIDIG_COMP_CNT: 0
; COMPUTE_PGM_RSRC3_GFX90A:ACCUM_OFFSET: 2
; COMPUTE_PGM_RSRC3_GFX90A:TG_SPLIT: 0
	.section	.text._ZN2at6native28tensor_kernel_scan_outer_dimIfmSt4plusIfEEEvPT_PKS4_jjjS4_T1_,"axG",@progbits,_ZN2at6native28tensor_kernel_scan_outer_dimIfmSt4plusIfEEEvPT_PKS4_jjjS4_T1_,comdat
	.protected	_ZN2at6native28tensor_kernel_scan_outer_dimIfmSt4plusIfEEEvPT_PKS4_jjjS4_T1_ ; -- Begin function _ZN2at6native28tensor_kernel_scan_outer_dimIfmSt4plusIfEEEvPT_PKS4_jjjS4_T1_
	.globl	_ZN2at6native28tensor_kernel_scan_outer_dimIfmSt4plusIfEEEvPT_PKS4_jjjS4_T1_
	.p2align	8
	.type	_ZN2at6native28tensor_kernel_scan_outer_dimIfmSt4plusIfEEEvPT_PKS4_jjjS4_T1_,@function
_ZN2at6native28tensor_kernel_scan_outer_dimIfmSt4plusIfEEEvPT_PKS4_jjjS4_T1_: ; @_ZN2at6native28tensor_kernel_scan_outer_dimIfmSt4plusIfEEEvPT_PKS4_jjjS4_T1_
; %bb.0:
	s_load_dwordx4 s[8:11], s[0:1], 0x10
	s_waitcnt lgkmcnt(0)
	s_cmp_ge_u32 s2, s8
	s_cbranch_scc1 .LBB76_9
; %bb.1:
	s_load_dword s4, s[0:1], 0x34
	s_load_dwordx4 s[12:15], s[0:1], 0x0
	s_load_dword s26, s[0:1], 0x28
	s_add_u32 s6, s0, 40
	s_addc_u32 s7, s1, 0
	s_waitcnt lgkmcnt(0)
	s_and_b32 s27, s4, 0xffff
	s_cmp_lg_u32 s10, 0
	s_mul_i32 s3, s3, s27
	s_cselect_b64 s[20:21], -1, 0
	v_add_u32_e32 v4, s3, v0
	s_mov_b32 s5, 0
	s_mov_b32 s4, s9
	s_mul_hi_u32 s17, s10, s9
	s_mul_i32 s16, s10, s9
	v_cndmask_b32_e64 v0, 0, 1, s[20:21]
	v_cmp_gt_u32_e64 s[0:1], s9, v4
	s_lshl_b64 s[16:17], s[16:17], 2
	s_lshl_b64 s[18:19], s[4:5], 2
	v_cmp_ne_u32_e64 s[4:5], 1, v0
	v_mov_b32_e32 v1, 0
	s_branch .LBB76_3
.LBB76_2:                               ;   in Loop: Header=BB76_3 Depth=1
	s_or_b64 exec, exec, s[20:21]
	s_add_i32 s2, s2, s26
	s_cmp_ge_u32 s2, s8
	s_cbranch_scc1 .LBB76_9
.LBB76_3:                               ; =>This Loop Header: Depth=1
                                        ;     Child Loop BB76_6 Depth 2
                                        ;       Child Loop BB76_8 Depth 3
	s_and_saveexec_b64 s[20:21], s[0:1]
	s_cbranch_execz .LBB76_2
; %bb.4:                                ;   in Loop: Header=BB76_3 Depth=1
	s_load_dword s3, s[6:7], 0x4
	s_mul_i32 s23, s17, s2
	s_mul_hi_u32 s24, s16, s2
	s_mul_i32 s22, s16, s2
	s_add_i32 s23, s24, s23
	s_waitcnt lgkmcnt(0)
	s_mul_i32 s3, s3, s27
	s_mov_b64 s[24:25], 0
	v_mov_b32_e32 v0, v4
	s_branch .LBB76_6
.LBB76_5:                               ;   in Loop: Header=BB76_6 Depth=2
	v_add_u32_e32 v0, s3, v0
	v_cmp_le_u32_e32 vcc, s9, v0
	s_or_b64 s[24:25], vcc, s[24:25]
	s_andn2_b64 exec, exec, s[24:25]
	s_cbranch_execz .LBB76_2
.LBB76_6:                               ;   Parent Loop BB76_3 Depth=1
                                        ; =>  This Loop Header: Depth=2
                                        ;       Child Loop BB76_8 Depth 3
	s_and_b64 vcc, exec, s[4:5]
	s_cbranch_vccnz .LBB76_5
; %bb.7:                                ;   in Loop: Header=BB76_6 Depth=2
	v_lshl_add_u64 v[2:3], v[0:1], 2, s[22:23]
	v_mov_b32_e32 v5, s11
	s_mov_b32 s28, s10
.LBB76_8:                               ;   Parent Loop BB76_3 Depth=1
                                        ;     Parent Loop BB76_6 Depth=2
                                        ; =>    This Inner Loop Header: Depth=3
	v_lshl_add_u64 v[6:7], s[14:15], 0, v[2:3]
	global_load_dword v8, v[6:7], off
	s_add_i32 s28, s28, -1
	v_lshl_add_u64 v[6:7], s[12:13], 0, v[2:3]
	v_lshl_add_u64 v[2:3], v[2:3], 0, s[18:19]
	s_cmp_eq_u32 s28, 0
	s_waitcnt vmcnt(0)
	v_add_f32_e32 v5, v5, v8
	global_store_dword v[6:7], v5, off
	s_cbranch_scc0 .LBB76_8
	s_branch .LBB76_5
.LBB76_9:
	s_endpgm
	.section	.rodata,"a",@progbits
	.p2align	6, 0x0
	.amdhsa_kernel _ZN2at6native28tensor_kernel_scan_outer_dimIfmSt4plusIfEEEvPT_PKS4_jjjS4_T1_
		.amdhsa_group_segment_fixed_size 0
		.amdhsa_private_segment_fixed_size 0
		.amdhsa_kernarg_size 296
		.amdhsa_user_sgpr_count 2
		.amdhsa_user_sgpr_dispatch_ptr 0
		.amdhsa_user_sgpr_queue_ptr 0
		.amdhsa_user_sgpr_kernarg_segment_ptr 1
		.amdhsa_user_sgpr_dispatch_id 0
		.amdhsa_user_sgpr_kernarg_preload_length 0
		.amdhsa_user_sgpr_kernarg_preload_offset 0
		.amdhsa_user_sgpr_private_segment_size 0
		.amdhsa_uses_dynamic_stack 0
		.amdhsa_enable_private_segment 0
		.amdhsa_system_sgpr_workgroup_id_x 1
		.amdhsa_system_sgpr_workgroup_id_y 1
		.amdhsa_system_sgpr_workgroup_id_z 0
		.amdhsa_system_sgpr_workgroup_info 0
		.amdhsa_system_vgpr_workitem_id 0
		.amdhsa_next_free_vgpr 9
		.amdhsa_next_free_sgpr 29
		.amdhsa_accum_offset 12
		.amdhsa_reserve_vcc 1
		.amdhsa_float_round_mode_32 0
		.amdhsa_float_round_mode_16_64 0
		.amdhsa_float_denorm_mode_32 3
		.amdhsa_float_denorm_mode_16_64 3
		.amdhsa_dx10_clamp 1
		.amdhsa_ieee_mode 1
		.amdhsa_fp16_overflow 0
		.amdhsa_tg_split 0
		.amdhsa_exception_fp_ieee_invalid_op 0
		.amdhsa_exception_fp_denorm_src 0
		.amdhsa_exception_fp_ieee_div_zero 0
		.amdhsa_exception_fp_ieee_overflow 0
		.amdhsa_exception_fp_ieee_underflow 0
		.amdhsa_exception_fp_ieee_inexact 0
		.amdhsa_exception_int_div_zero 0
	.end_amdhsa_kernel
	.section	.text._ZN2at6native28tensor_kernel_scan_outer_dimIfmSt4plusIfEEEvPT_PKS4_jjjS4_T1_,"axG",@progbits,_ZN2at6native28tensor_kernel_scan_outer_dimIfmSt4plusIfEEEvPT_PKS4_jjjS4_T1_,comdat
.Lfunc_end76:
	.size	_ZN2at6native28tensor_kernel_scan_outer_dimIfmSt4plusIfEEEvPT_PKS4_jjjS4_T1_, .Lfunc_end76-_ZN2at6native28tensor_kernel_scan_outer_dimIfmSt4plusIfEEEvPT_PKS4_jjjS4_T1_
                                        ; -- End function
	.set _ZN2at6native28tensor_kernel_scan_outer_dimIfmSt4plusIfEEEvPT_PKS4_jjjS4_T1_.num_vgpr, 9
	.set _ZN2at6native28tensor_kernel_scan_outer_dimIfmSt4plusIfEEEvPT_PKS4_jjjS4_T1_.num_agpr, 0
	.set _ZN2at6native28tensor_kernel_scan_outer_dimIfmSt4plusIfEEEvPT_PKS4_jjjS4_T1_.numbered_sgpr, 29
	.set _ZN2at6native28tensor_kernel_scan_outer_dimIfmSt4plusIfEEEvPT_PKS4_jjjS4_T1_.num_named_barrier, 0
	.set _ZN2at6native28tensor_kernel_scan_outer_dimIfmSt4plusIfEEEvPT_PKS4_jjjS4_T1_.private_seg_size, 0
	.set _ZN2at6native28tensor_kernel_scan_outer_dimIfmSt4plusIfEEEvPT_PKS4_jjjS4_T1_.uses_vcc, 1
	.set _ZN2at6native28tensor_kernel_scan_outer_dimIfmSt4plusIfEEEvPT_PKS4_jjjS4_T1_.uses_flat_scratch, 0
	.set _ZN2at6native28tensor_kernel_scan_outer_dimIfmSt4plusIfEEEvPT_PKS4_jjjS4_T1_.has_dyn_sized_stack, 0
	.set _ZN2at6native28tensor_kernel_scan_outer_dimIfmSt4plusIfEEEvPT_PKS4_jjjS4_T1_.has_recursion, 0
	.set _ZN2at6native28tensor_kernel_scan_outer_dimIfmSt4plusIfEEEvPT_PKS4_jjjS4_T1_.has_indirect_call, 0
	.section	.AMDGPU.csdata,"",@progbits
; Kernel info:
; codeLenInByte = 316
; TotalNumSgprs: 35
; NumVgprs: 9
; NumAgprs: 0
; TotalNumVgprs: 9
; ScratchSize: 0
; MemoryBound: 0
; FloatMode: 240
; IeeeMode: 1
; LDSByteSize: 0 bytes/workgroup (compile time only)
; SGPRBlocks: 4
; VGPRBlocks: 1
; NumSGPRsForWavesPerEU: 35
; NumVGPRsForWavesPerEU: 9
; AccumOffset: 12
; Occupancy: 8
; WaveLimiterHint : 0
; COMPUTE_PGM_RSRC2:SCRATCH_EN: 0
; COMPUTE_PGM_RSRC2:USER_SGPR: 2
; COMPUTE_PGM_RSRC2:TRAP_HANDLER: 0
; COMPUTE_PGM_RSRC2:TGID_X_EN: 1
; COMPUTE_PGM_RSRC2:TGID_Y_EN: 1
; COMPUTE_PGM_RSRC2:TGID_Z_EN: 0
; COMPUTE_PGM_RSRC2:TIDIG_COMP_CNT: 0
; COMPUTE_PGM_RSRC3_GFX90A:ACCUM_OFFSET: 2
; COMPUTE_PGM_RSRC3_GFX90A:TG_SPLIT: 0
	.section	.text._ZN2at4cuda3cub15calc_block_sumsILi128ELi16ELb0EN3c107complexIdEES5_EEvPKT2_PT3_li,"axG",@progbits,_ZN2at4cuda3cub15calc_block_sumsILi128ELi16ELb0EN3c107complexIdEES5_EEvPKT2_PT3_li,comdat
	.protected	_ZN2at4cuda3cub15calc_block_sumsILi128ELi16ELb0EN3c107complexIdEES5_EEvPKT2_PT3_li ; -- Begin function _ZN2at4cuda3cub15calc_block_sumsILi128ELi16ELb0EN3c107complexIdEES5_EEvPKT2_PT3_li
	.globl	_ZN2at4cuda3cub15calc_block_sumsILi128ELi16ELb0EN3c107complexIdEES5_EEvPKT2_PT3_li
	.p2align	8
	.type	_ZN2at4cuda3cub15calc_block_sumsILi128ELi16ELb0EN3c107complexIdEES5_EEvPKT2_PT3_li,@function
_ZN2at4cuda3cub15calc_block_sumsILi128ELi16ELb0EN3c107complexIdEES5_EEvPKT2_PT3_li: ; @_ZN2at4cuda3cub15calc_block_sumsILi128ELi16ELb0EN3c107complexIdEES5_EEvPKT2_PT3_li
; %bb.0:
	s_load_dword s14, s[0:1], 0x18
	s_load_dwordx2 s[4:5], s[0:1], 0x10
	s_waitcnt lgkmcnt(0)
	s_lshl_b32 s3, s14, 11
	s_ashr_i32 s6, s3, 31
	s_mul_hi_u32 s7, s3, s2
	s_mul_i32 s6, s6, s2
	s_add_i32 s11, s7, s6
	s_mul_i32 s10, s3, s2
	s_sub_u32 s8, s4, s10
	s_subb_u32 s9, s5, s11
	v_cmp_lt_i64_e64 s[4:5], s[8:9], 1
	s_and_b64 vcc, exec, s[4:5]
	s_cbranch_vccnz .LBB77_56
; %bb.1:
	s_load_dwordx4 s[4:7], s[0:1], 0x0
	s_cmp_gt_i32 s14, 0
	s_mov_b32 s3, 0
	s_cbranch_scc1 .LBB77_3
; %bb.2:
	s_mov_b64 s[0:1], -1
	v_mov_b64_e32 v[4:5], 0
	v_mov_b64_e32 v[2:3], 0
	s_cbranch_execz .LBB77_4
	s_branch .LBB77_53
.LBB77_3:
	s_mov_b64 s[0:1], 0
	v_mov_b64_e32 v[4:5], 0
	v_mov_b64_e32 v[2:3], 0
.LBB77_4:
	s_lshl_b64 s[10:11], s[10:11], 4
	v_lshrrev_b32_e32 v2, 2, v0
	s_waitcnt lgkmcnt(0)
	s_add_u32 s4, s4, s10
	v_and_b32_e32 v76, 0xf0, v2
	v_lshlrev_b32_e32 v2, 4, v0
	v_mov_b32_e32 v3, 0
	s_addc_u32 s5, s5, s11
	v_lshl_add_u64 v[70:71], s[4:5], 0, v[2:3]
	v_mbcnt_lo_u32_b32 v2, -1, 0
	v_add_u32_e32 v1, 0x780, v0
	v_cmp_gt_u32_e64 s[0:1], 64, v0
	v_mov_b64_e32 v[4:5], 0
	v_mov_b64_e32 v[72:73], 0x800
	s_mov_b64 s[4:5], 0x8000
	v_mbcnt_hi_u32_b32 v77, -1, v2
	v_mov_b64_e32 v[74:75], 0x801
	v_mov_b64_e32 v[2:3], 0
	s_branch .LBB77_6
.LBB77_5:                               ;   in Loop: Header=BB77_6 Depth=1
	s_andn2_b64 vcc, exec, s[12:13]
	s_cbranch_vccz .LBB77_52
.LBB77_6:                               ; =>This Inner Loop Header: Depth=1
	v_cmp_lt_i64_e32 vcc, s[8:9], v[72:73]
	s_mov_b64 s[10:11], -1
                                        ; implicit-def: $vgpr8_vgpr9
	s_cbranch_vccz .LBB77_44
; %bb.7:                                ;   in Loop: Header=BB77_6 Depth=1
	v_cmp_gt_u32_e32 vcc, s8, v0
	v_mov_b64_e32 v[8:9], 0
	v_mov_b64_e32 v[12:13], 0
	;; [unrolled: 1-line block ×3, first 2 shown]
	s_and_saveexec_b64 s[10:11], vcc
	s_cbranch_execz .LBB77_9
; %bb.8:                                ;   in Loop: Header=BB77_6 Depth=1
	global_load_dwordx4 v[10:13], v[70:71], off
.LBB77_9:                               ;   in Loop: Header=BB77_6 Depth=1
	s_or_b64 exec, exec, s[10:11]
	v_add_u32_e32 v6, 0x80, v0
	v_cmp_gt_u32_e32 vcc, s8, v6
	v_mov_b64_e32 v[6:7], 0
	s_and_saveexec_b64 s[10:11], vcc
	s_cbranch_execz .LBB77_11
; %bb.10:                               ;   in Loop: Header=BB77_6 Depth=1
	global_load_dwordx4 v[6:9], v[70:71], off offset:2048
.LBB77_11:                              ;   in Loop: Header=BB77_6 Depth=1
	s_or_b64 exec, exec, s[10:11]
	v_add_u32_e32 v14, 0x100, v0
	v_cmp_gt_u32_e32 vcc, s8, v14
	v_mov_b64_e32 v[16:17], 0
	v_mov_b64_e32 v[20:21], 0
	v_mov_b64_e32 v[18:19], 0
	s_and_saveexec_b64 s[10:11], vcc
	s_cbranch_execz .LBB77_13
; %bb.12:                               ;   in Loop: Header=BB77_6 Depth=1
	v_add_co_u32_e32 v14, vcc, 0x1000, v70
	s_nop 1
	v_addc_co_u32_e32 v15, vcc, 0, v71, vcc
	global_load_dwordx4 v[18:21], v[14:15], off
.LBB77_13:                              ;   in Loop: Header=BB77_6 Depth=1
	s_or_b64 exec, exec, s[10:11]
	v_add_u32_e32 v14, 0x180, v0
	v_cmp_gt_u32_e32 vcc, s8, v14
	v_mov_b64_e32 v[14:15], 0
	s_and_saveexec_b64 s[10:11], vcc
	s_cbranch_execz .LBB77_15
; %bb.14:                               ;   in Loop: Header=BB77_6 Depth=1
	v_add_co_u32_e32 v14, vcc, 0x1000, v70
	s_nop 1
	v_addc_co_u32_e32 v15, vcc, 0, v71, vcc
	global_load_dwordx4 v[14:17], v[14:15], off offset:2048
.LBB77_15:                              ;   in Loop: Header=BB77_6 Depth=1
	s_or_b64 exec, exec, s[10:11]
	v_add_u32_e32 v22, 0x200, v0
	v_cmp_gt_u32_e32 vcc, s8, v22
	v_mov_b64_e32 v[24:25], 0
	v_mov_b64_e32 v[28:29], 0
	v_mov_b64_e32 v[26:27], 0
	s_and_saveexec_b64 s[10:11], vcc
	s_cbranch_execz .LBB77_17
; %bb.16:                               ;   in Loop: Header=BB77_6 Depth=1
	v_add_co_u32_e32 v22, vcc, 0x2000, v70
	s_nop 1
	v_addc_co_u32_e32 v23, vcc, 0, v71, vcc
	global_load_dwordx4 v[26:29], v[22:23], off
.LBB77_17:                              ;   in Loop: Header=BB77_6 Depth=1
	s_or_b64 exec, exec, s[10:11]
	v_add_u32_e32 v22, 0x280, v0
	v_cmp_gt_u32_e32 vcc, s8, v22
	v_mov_b64_e32 v[22:23], 0
	s_and_saveexec_b64 s[10:11], vcc
	s_cbranch_execz .LBB77_19
; %bb.18:                               ;   in Loop: Header=BB77_6 Depth=1
	v_add_co_u32_e32 v22, vcc, 0x2000, v70
	s_nop 1
	v_addc_co_u32_e32 v23, vcc, 0, v71, vcc
	global_load_dwordx4 v[22:25], v[22:23], off offset:2048
.LBB77_19:                              ;   in Loop: Header=BB77_6 Depth=1
	;; [unrolled: 26-line block ×3, first 2 shown]
	s_or_b64 exec, exec, s[10:11]
	v_or_b32_e32 v38, 0x400, v0
	v_cmp_gt_u32_e32 vcc, s8, v38
	v_mov_b64_e32 v[40:41], 0
	v_mov_b64_e32 v[44:45], 0
	v_mov_b64_e32 v[42:43], 0
	s_and_saveexec_b64 s[10:11], vcc
	s_cbranch_execz .LBB77_25
; %bb.24:                               ;   in Loop: Header=BB77_6 Depth=1
	v_add_co_u32_e32 v38, vcc, 0x4000, v70
	s_nop 1
	v_addc_co_u32_e32 v39, vcc, 0, v71, vcc
	global_load_dwordx4 v[42:45], v[38:39], off
.LBB77_25:                              ;   in Loop: Header=BB77_6 Depth=1
	s_or_b64 exec, exec, s[10:11]
	v_add_u32_e32 v38, 0x480, v0
	v_cmp_gt_u32_e32 vcc, s8, v38
	v_mov_b64_e32 v[38:39], 0
	s_and_saveexec_b64 s[10:11], vcc
	s_cbranch_execz .LBB77_27
; %bb.26:                               ;   in Loop: Header=BB77_6 Depth=1
	v_add_co_u32_e32 v38, vcc, 0x4000, v70
	s_nop 1
	v_addc_co_u32_e32 v39, vcc, 0, v71, vcc
	global_load_dwordx4 v[38:41], v[38:39], off offset:2048
.LBB77_27:                              ;   in Loop: Header=BB77_6 Depth=1
	s_or_b64 exec, exec, s[10:11]
	v_add_u32_e32 v46, 0x500, v0
	v_cmp_gt_u32_e32 vcc, s8, v46
	v_mov_b64_e32 v[48:49], 0
	v_mov_b64_e32 v[52:53], 0
	v_mov_b64_e32 v[50:51], 0
	s_and_saveexec_b64 s[10:11], vcc
	s_cbranch_execz .LBB77_29
; %bb.28:                               ;   in Loop: Header=BB77_6 Depth=1
	v_add_co_u32_e32 v46, vcc, 0x5000, v70
	s_nop 1
	v_addc_co_u32_e32 v47, vcc, 0, v71, vcc
	global_load_dwordx4 v[50:53], v[46:47], off
.LBB77_29:                              ;   in Loop: Header=BB77_6 Depth=1
	s_or_b64 exec, exec, s[10:11]
	v_add_u32_e32 v46, 0x580, v0
	v_cmp_gt_u32_e32 vcc, s8, v46
	v_mov_b64_e32 v[46:47], 0
	s_and_saveexec_b64 s[10:11], vcc
	s_cbranch_execz .LBB77_31
; %bb.30:                               ;   in Loop: Header=BB77_6 Depth=1
	v_add_co_u32_e32 v46, vcc, 0x5000, v70
	s_nop 1
	v_addc_co_u32_e32 v47, vcc, 0, v71, vcc
	global_load_dwordx4 v[46:49], v[46:47], off offset:2048
.LBB77_31:                              ;   in Loop: Header=BB77_6 Depth=1
	s_or_b64 exec, exec, s[10:11]
	v_add_u32_e32 v54, 0x600, v0
	;; [unrolled: 26-line block ×3, first 2 shown]
	v_cmp_gt_u32_e32 vcc, s8, v62
	v_mov_b64_e32 v[64:65], 0
	v_mov_b64_e32 v[68:69], 0
	;; [unrolled: 1-line block ×3, first 2 shown]
	s_and_saveexec_b64 s[10:11], vcc
	s_cbranch_execz .LBB77_37
; %bb.36:                               ;   in Loop: Header=BB77_6 Depth=1
	v_add_co_u32_e32 v62, vcc, 0x7000, v70
	s_nop 1
	v_addc_co_u32_e32 v63, vcc, 0, v71, vcc
	global_load_dwordx4 v[66:69], v[62:63], off
.LBB77_37:                              ;   in Loop: Header=BB77_6 Depth=1
	s_or_b64 exec, exec, s[10:11]
	v_cmp_gt_u32_e32 vcc, s8, v1
	v_mov_b64_e32 v[62:63], 0
	s_and_saveexec_b64 s[10:11], vcc
	s_cbranch_execz .LBB77_39
; %bb.38:                               ;   in Loop: Header=BB77_6 Depth=1
	v_add_co_u32_e32 v62, vcc, 0x7000, v70
	s_nop 1
	v_addc_co_u32_e32 v63, vcc, 0, v71, vcc
	global_load_dwordx4 v[62:65], v[62:63], off offset:2048
.LBB77_39:                              ;   in Loop: Header=BB77_6 Depth=1
	s_or_b64 exec, exec, s[10:11]
	s_waitcnt vmcnt(0)
	v_add_f64 v[6:7], v[10:11], v[6:7]
	v_add_f64 v[8:9], v[12:13], v[8:9]
	;; [unrolled: 1-line block ×30, first 2 shown]
	v_cmp_eq_u32_e32 vcc, 0, v77
	v_mov_b32_dpp v10, v6 quad_perm:[1,0,3,2] row_mask:0xf bank_mask:0xf
	v_mov_b32_dpp v11, v7 quad_perm:[1,0,3,2] row_mask:0xf bank_mask:0xf
	;; [unrolled: 1-line block ×4, first 2 shown]
	v_add_f64 v[6:7], v[6:7], v[10:11]
	v_add_f64 v[8:9], v[8:9], v[12:13]
	s_nop 0
	v_mov_b32_dpp v10, v6 quad_perm:[2,3,0,1] row_mask:0xf bank_mask:0xf
	v_mov_b32_dpp v11, v7 quad_perm:[2,3,0,1] row_mask:0xf bank_mask:0xf
	;; [unrolled: 1-line block ×4, first 2 shown]
	v_add_f64 v[6:7], v[6:7], v[10:11]
	v_add_f64 v[8:9], v[8:9], v[12:13]
	s_barrier
	v_mov_b32_dpp v10, v6 row_ror:4 row_mask:0xf bank_mask:0xf
	v_mov_b32_dpp v11, v7 row_ror:4 row_mask:0xf bank_mask:0xf
	;; [unrolled: 1-line block ×4, first 2 shown]
	v_add_f64 v[6:7], v[6:7], v[10:11]
	v_add_f64 v[8:9], v[8:9], v[12:13]
	s_nop 0
	v_mov_b32_dpp v10, v6 row_ror:8 row_mask:0xf bank_mask:0xf
	v_mov_b32_dpp v11, v7 row_ror:8 row_mask:0xf bank_mask:0xf
	;; [unrolled: 1-line block ×4, first 2 shown]
	v_add_f64 v[6:7], v[6:7], v[10:11]
	v_add_f64 v[8:9], v[8:9], v[12:13]
	s_nop 0
	v_mov_b32_dpp v10, v6 row_bcast:15 row_mask:0xf bank_mask:0xf
	v_mov_b32_dpp v11, v7 row_bcast:15 row_mask:0xf bank_mask:0xf
	;; [unrolled: 1-line block ×4, first 2 shown]
	v_add_f64 v[6:7], v[6:7], v[10:11]
	v_add_f64 v[8:9], v[8:9], v[12:13]
	s_nop 0
	v_mov_b32_dpp v10, v6 row_bcast:31 row_mask:0xf bank_mask:0xf
	v_mov_b32_dpp v11, v7 row_bcast:31 row_mask:0xf bank_mask:0xf
	;; [unrolled: 1-line block ×4, first 2 shown]
	v_add_f64 v[6:7], v[6:7], v[10:11]
	v_lshlrev_b32_e32 v10, 2, v77
	v_add_f64 v[8:9], v[8:9], v[12:13]
	v_or_b32_e32 v11, 0xfc, v10
	ds_bpermute_b32 v6, v11, v6
	ds_bpermute_b32 v7, v11, v7
	;; [unrolled: 1-line block ×4, first 2 shown]
	s_and_saveexec_b64 s[10:11], vcc
	s_cbranch_execz .LBB77_41
; %bb.40:                               ;   in Loop: Header=BB77_6 Depth=1
	s_waitcnt lgkmcnt(0)
	ds_write_b128 v76, v[6:9]
.LBB77_41:                              ;   in Loop: Header=BB77_6 Depth=1
	s_or_b64 exec, exec, s[10:11]
	s_waitcnt lgkmcnt(0)
	s_barrier
	s_and_saveexec_b64 s[10:11], s[0:1]
	s_cbranch_execz .LBB77_43
; %bb.42:                               ;   in Loop: Header=BB77_6 Depth=1
	v_and_b32_e32 v6, 1, v77
	v_lshlrev_b32_e32 v6, 4, v6
	ds_read_b128 v[6:9], v6
	v_or_b32_e32 v13, 4, v10
	s_waitcnt lgkmcnt(0)
	ds_bpermute_b32 v10, v13, v6
	ds_bpermute_b32 v11, v13, v7
	;; [unrolled: 1-line block ×4, first 2 shown]
	s_waitcnt lgkmcnt(2)
	v_add_f64 v[6:7], v[6:7], v[10:11]
	s_waitcnt lgkmcnt(0)
	v_add_f64 v[8:9], v[8:9], v[12:13]
.LBB77_43:                              ;   in Loop: Header=BB77_6 Depth=1
	s_or_b64 exec, exec, s[10:11]
	s_mov_b64 s[10:11], 0
.LBB77_44:                              ;   in Loop: Header=BB77_6 Depth=1
	s_and_b64 vcc, exec, s[10:11]
	s_cbranch_vccz .LBB77_50
; %bb.45:                               ;   in Loop: Header=BB77_6 Depth=1
	global_load_dwordx4 v[6:9], v[70:71], off
	global_load_dwordx4 v[10:13], v[70:71], off offset:2048
	v_add_co_u32_e32 v22, vcc, 0x1000, v70
	s_waitcnt vmcnt(0)
	v_add_f64 v[6:7], v[6:7], v[10:11]
	v_addc_co_u32_e32 v23, vcc, 0, v71, vcc
	v_add_co_u32_e32 v30, vcc, 0x2000, v70
	global_load_dwordx4 v[14:17], v[22:23], off
	global_load_dwordx4 v[18:21], v[22:23], off offset:2048
	v_addc_co_u32_e32 v31, vcc, 0, v71, vcc
	v_add_co_u32_e32 v38, vcc, 0x3000, v70
	global_load_dwordx4 v[26:29], v[30:31], off
	global_load_dwordx4 v[22:25], v[30:31], off offset:2048
	;; [unrolled: 4-line block ×4, first 2 shown]
	v_addc_co_u32_e32 v51, vcc, 0, v71, vcc
	v_add_co_u32_e32 v58, vcc, 0x6000, v70
	global_load_dwordx4 v[46:49], v[50:51], off
	s_nop 0
	global_load_dwordx4 v[50:53], v[50:51], off offset:2048
	v_addc_co_u32_e32 v59, vcc, 0, v71, vcc
	v_add_co_u32_e32 v66, vcc, 0x7000, v70
	global_load_dwordx4 v[54:57], v[58:59], off
	s_nop 0
	global_load_dwordx4 v[58:61], v[58:59], off offset:2048
	v_addc_co_u32_e32 v67, vcc, 0, v71, vcc
	global_load_dwordx4 v[62:65], v[66:67], off
	s_nop 0
	global_load_dwordx4 v[66:69], v[66:67], off offset:2048
	v_add_f64 v[8:9], v[8:9], v[12:13]
	v_cmp_eq_u32_e32 vcc, 0, v77
	s_barrier
	s_waitcnt vmcnt(13)
	v_add_f64 v[6:7], v[6:7], v[14:15]
	v_add_f64 v[8:9], v[8:9], v[16:17]
	s_waitcnt vmcnt(12)
	v_add_f64 v[6:7], v[6:7], v[18:19]
	v_add_f64 v[8:9], v[8:9], v[20:21]
	;; [unrolled: 3-line block ×14, first 2 shown]
	s_nop 0
	v_mov_b32_dpp v10, v6 quad_perm:[1,0,3,2] row_mask:0xf bank_mask:0xf
	v_mov_b32_dpp v11, v7 quad_perm:[1,0,3,2] row_mask:0xf bank_mask:0xf
	;; [unrolled: 1-line block ×4, first 2 shown]
	v_add_f64 v[6:7], v[6:7], v[10:11]
	v_add_f64 v[8:9], v[8:9], v[12:13]
	s_nop 0
	v_mov_b32_dpp v10, v6 quad_perm:[2,3,0,1] row_mask:0xf bank_mask:0xf
	v_mov_b32_dpp v11, v7 quad_perm:[2,3,0,1] row_mask:0xf bank_mask:0xf
	;; [unrolled: 1-line block ×4, first 2 shown]
	v_add_f64 v[6:7], v[6:7], v[10:11]
	v_add_f64 v[8:9], v[8:9], v[12:13]
	s_nop 0
	v_mov_b32_dpp v10, v6 row_ror:4 row_mask:0xf bank_mask:0xf
	v_mov_b32_dpp v11, v7 row_ror:4 row_mask:0xf bank_mask:0xf
	;; [unrolled: 1-line block ×4, first 2 shown]
	v_add_f64 v[6:7], v[6:7], v[10:11]
	v_add_f64 v[8:9], v[8:9], v[12:13]
	s_nop 0
	v_mov_b32_dpp v10, v6 row_ror:8 row_mask:0xf bank_mask:0xf
	v_mov_b32_dpp v11, v7 row_ror:8 row_mask:0xf bank_mask:0xf
	;; [unrolled: 1-line block ×4, first 2 shown]
	v_add_f64 v[6:7], v[6:7], v[10:11]
	v_add_f64 v[8:9], v[8:9], v[12:13]
	s_nop 0
	v_mov_b32_dpp v10, v6 row_bcast:15 row_mask:0xf bank_mask:0xf
	v_mov_b32_dpp v11, v7 row_bcast:15 row_mask:0xf bank_mask:0xf
	;; [unrolled: 1-line block ×4, first 2 shown]
	v_add_f64 v[6:7], v[6:7], v[10:11]
	v_add_f64 v[8:9], v[8:9], v[12:13]
	s_nop 0
	v_mov_b32_dpp v10, v6 row_bcast:31 row_mask:0xf bank_mask:0xf
	v_mov_b32_dpp v11, v7 row_bcast:31 row_mask:0xf bank_mask:0xf
	;; [unrolled: 1-line block ×4, first 2 shown]
	v_add_f64 v[6:7], v[6:7], v[10:11]
	v_lshlrev_b32_e32 v10, 2, v77
	v_add_f64 v[8:9], v[8:9], v[12:13]
	v_or_b32_e32 v11, 0xfc, v10
	ds_bpermute_b32 v6, v11, v6
	ds_bpermute_b32 v7, v11, v7
	ds_bpermute_b32 v8, v11, v8
	ds_bpermute_b32 v9, v11, v9
	s_and_saveexec_b64 s[10:11], vcc
	s_cbranch_execz .LBB77_47
; %bb.46:                               ;   in Loop: Header=BB77_6 Depth=1
	s_waitcnt lgkmcnt(0)
	ds_write_b128 v76, v[6:9]
.LBB77_47:                              ;   in Loop: Header=BB77_6 Depth=1
	s_or_b64 exec, exec, s[10:11]
	s_waitcnt lgkmcnt(0)
	s_barrier
	s_and_saveexec_b64 s[10:11], s[0:1]
	s_cbranch_execz .LBB77_49
; %bb.48:                               ;   in Loop: Header=BB77_6 Depth=1
	v_and_b32_e32 v6, 1, v77
	v_lshlrev_b32_e32 v6, 4, v6
	ds_read_b128 v[6:9], v6
	v_or_b32_e32 v13, 4, v10
	s_waitcnt lgkmcnt(0)
	ds_bpermute_b32 v10, v13, v6
	ds_bpermute_b32 v11, v13, v7
	;; [unrolled: 1-line block ×4, first 2 shown]
	s_waitcnt lgkmcnt(2)
	v_add_f64 v[6:7], v[6:7], v[10:11]
	s_waitcnt lgkmcnt(0)
	v_add_f64 v[8:9], v[8:9], v[12:13]
.LBB77_49:                              ;   in Loop: Header=BB77_6 Depth=1
	s_or_b64 exec, exec, s[10:11]
.LBB77_50:                              ;   in Loop: Header=BB77_6 Depth=1
	v_cmp_lt_i64_e32 vcc, s[8:9], v[74:75]
	s_mov_b64 s[10:11], -1
	s_mov_b64 s[12:13], -1
	s_cbranch_vccnz .LBB77_5
; %bb.51:                               ;   in Loop: Header=BB77_6 Depth=1
	s_add_u32 s8, s8, 0xfffff800
	s_addc_u32 s9, s9, -1
	s_add_i32 s14, s14, -1
	s_cmp_eq_u32 s14, 0
	v_add_f64 v[4:5], v[4:5], v[8:9]
	v_add_f64 v[2:3], v[2:3], v[6:7]
	v_lshl_add_u64 v[70:71], v[70:71], 0, s[4:5]
	s_mov_b64 s[10:11], 0
	s_cselect_b64 s[12:13], -1, 0
	s_barrier
	s_branch .LBB77_5
.LBB77_52:
	s_xor_b64 s[0:1], s[10:11], -1
.LBB77_53:
	s_and_b64 vcc, exec, s[0:1]
	s_cbranch_vccz .LBB77_56
; %bb.54:
	v_cmp_eq_u32_e32 vcc, 0, v0
	s_and_saveexec_b64 s[0:1], vcc
	s_cbranch_execz .LBB77_56
; %bb.55:
	s_lshl_b64 s[0:1], s[2:3], 4
	s_waitcnt lgkmcnt(0)
	s_add_u32 s0, s6, s0
	s_addc_u32 s1, s7, s1
	v_mov_b32_e32 v0, 0
	global_store_dwordx4 v0, v[2:5], s[0:1]
.LBB77_56:
	s_endpgm
	.section	.rodata,"a",@progbits
	.p2align	6, 0x0
	.amdhsa_kernel _ZN2at4cuda3cub15calc_block_sumsILi128ELi16ELb0EN3c107complexIdEES5_EEvPKT2_PT3_li
		.amdhsa_group_segment_fixed_size 32
		.amdhsa_private_segment_fixed_size 0
		.amdhsa_kernarg_size 28
		.amdhsa_user_sgpr_count 2
		.amdhsa_user_sgpr_dispatch_ptr 0
		.amdhsa_user_sgpr_queue_ptr 0
		.amdhsa_user_sgpr_kernarg_segment_ptr 1
		.amdhsa_user_sgpr_dispatch_id 0
		.amdhsa_user_sgpr_kernarg_preload_length 0
		.amdhsa_user_sgpr_kernarg_preload_offset 0
		.amdhsa_user_sgpr_private_segment_size 0
		.amdhsa_uses_dynamic_stack 0
		.amdhsa_enable_private_segment 0
		.amdhsa_system_sgpr_workgroup_id_x 1
		.amdhsa_system_sgpr_workgroup_id_y 0
		.amdhsa_system_sgpr_workgroup_id_z 0
		.amdhsa_system_sgpr_workgroup_info 0
		.amdhsa_system_vgpr_workitem_id 0
		.amdhsa_next_free_vgpr 78
		.amdhsa_next_free_sgpr 15
		.amdhsa_accum_offset 80
		.amdhsa_reserve_vcc 1
		.amdhsa_float_round_mode_32 0
		.amdhsa_float_round_mode_16_64 0
		.amdhsa_float_denorm_mode_32 3
		.amdhsa_float_denorm_mode_16_64 3
		.amdhsa_dx10_clamp 1
		.amdhsa_ieee_mode 1
		.amdhsa_fp16_overflow 0
		.amdhsa_tg_split 0
		.amdhsa_exception_fp_ieee_invalid_op 0
		.amdhsa_exception_fp_denorm_src 0
		.amdhsa_exception_fp_ieee_div_zero 0
		.amdhsa_exception_fp_ieee_overflow 0
		.amdhsa_exception_fp_ieee_underflow 0
		.amdhsa_exception_fp_ieee_inexact 0
		.amdhsa_exception_int_div_zero 0
	.end_amdhsa_kernel
	.section	.text._ZN2at4cuda3cub15calc_block_sumsILi128ELi16ELb0EN3c107complexIdEES5_EEvPKT2_PT3_li,"axG",@progbits,_ZN2at4cuda3cub15calc_block_sumsILi128ELi16ELb0EN3c107complexIdEES5_EEvPKT2_PT3_li,comdat
.Lfunc_end77:
	.size	_ZN2at4cuda3cub15calc_block_sumsILi128ELi16ELb0EN3c107complexIdEES5_EEvPKT2_PT3_li, .Lfunc_end77-_ZN2at4cuda3cub15calc_block_sumsILi128ELi16ELb0EN3c107complexIdEES5_EEvPKT2_PT3_li
                                        ; -- End function
	.set _ZN2at4cuda3cub15calc_block_sumsILi128ELi16ELb0EN3c107complexIdEES5_EEvPKT2_PT3_li.num_vgpr, 78
	.set _ZN2at4cuda3cub15calc_block_sumsILi128ELi16ELb0EN3c107complexIdEES5_EEvPKT2_PT3_li.num_agpr, 0
	.set _ZN2at4cuda3cub15calc_block_sumsILi128ELi16ELb0EN3c107complexIdEES5_EEvPKT2_PT3_li.numbered_sgpr, 15
	.set _ZN2at4cuda3cub15calc_block_sumsILi128ELi16ELb0EN3c107complexIdEES5_EEvPKT2_PT3_li.num_named_barrier, 0
	.set _ZN2at4cuda3cub15calc_block_sumsILi128ELi16ELb0EN3c107complexIdEES5_EEvPKT2_PT3_li.private_seg_size, 0
	.set _ZN2at4cuda3cub15calc_block_sumsILi128ELi16ELb0EN3c107complexIdEES5_EEvPKT2_PT3_li.uses_vcc, 1
	.set _ZN2at4cuda3cub15calc_block_sumsILi128ELi16ELb0EN3c107complexIdEES5_EEvPKT2_PT3_li.uses_flat_scratch, 0
	.set _ZN2at4cuda3cub15calc_block_sumsILi128ELi16ELb0EN3c107complexIdEES5_EEvPKT2_PT3_li.has_dyn_sized_stack, 0
	.set _ZN2at4cuda3cub15calc_block_sumsILi128ELi16ELb0EN3c107complexIdEES5_EEvPKT2_PT3_li.has_recursion, 0
	.set _ZN2at4cuda3cub15calc_block_sumsILi128ELi16ELb0EN3c107complexIdEES5_EEvPKT2_PT3_li.has_indirect_call, 0
	.section	.AMDGPU.csdata,"",@progbits
; Kernel info:
; codeLenInByte = 2980
; TotalNumSgprs: 21
; NumVgprs: 78
; NumAgprs: 0
; TotalNumVgprs: 78
; ScratchSize: 0
; MemoryBound: 1
; FloatMode: 240
; IeeeMode: 1
; LDSByteSize: 32 bytes/workgroup (compile time only)
; SGPRBlocks: 2
; VGPRBlocks: 9
; NumSGPRsForWavesPerEU: 21
; NumVGPRsForWavesPerEU: 78
; AccumOffset: 80
; Occupancy: 6
; WaveLimiterHint : 1
; COMPUTE_PGM_RSRC2:SCRATCH_EN: 0
; COMPUTE_PGM_RSRC2:USER_SGPR: 2
; COMPUTE_PGM_RSRC2:TRAP_HANDLER: 0
; COMPUTE_PGM_RSRC2:TGID_X_EN: 1
; COMPUTE_PGM_RSRC2:TGID_Y_EN: 0
; COMPUTE_PGM_RSRC2:TGID_Z_EN: 0
; COMPUTE_PGM_RSRC2:TIDIG_COMP_CNT: 0
; COMPUTE_PGM_RSRC3_GFX90A:ACCUM_OFFSET: 19
; COMPUTE_PGM_RSRC3_GFX90A:TG_SPLIT: 0
	.section	.text._ZN2at4cuda3cub17final_scan_kernelILi128ELi16EN3c107complexIdEEEEvPKT1_PS6_S9_li,"axG",@progbits,_ZN2at4cuda3cub17final_scan_kernelILi128ELi16EN3c107complexIdEEEEvPKT1_PS6_S9_li,comdat
	.protected	_ZN2at4cuda3cub17final_scan_kernelILi128ELi16EN3c107complexIdEEEEvPKT1_PS6_S9_li ; -- Begin function _ZN2at4cuda3cub17final_scan_kernelILi128ELi16EN3c107complexIdEEEEvPKT1_PS6_S9_li
	.globl	_ZN2at4cuda3cub17final_scan_kernelILi128ELi16EN3c107complexIdEEEEvPKT1_PS6_S9_li
	.p2align	8
	.type	_ZN2at4cuda3cub17final_scan_kernelILi128ELi16EN3c107complexIdEEEEvPKT1_PS6_S9_li,@function
_ZN2at4cuda3cub17final_scan_kernelILi128ELi16EN3c107complexIdEEEEvPKT1_PS6_S9_li: ; @_ZN2at4cuda3cub17final_scan_kernelILi128ELi16EN3c107complexIdEEEEvPKT1_PS6_S9_li
; %bb.0:
	s_load_dword s33, s[0:1], 0x20
	s_load_dwordx8 s[36:43], s[0:1], 0x0
	s_waitcnt lgkmcnt(0)
	s_lshl_b32 s3, s33, 11
	s_ashr_i32 s4, s3, 31
	s_mul_hi_u32 s5, s3, s2
	s_mul_i32 s4, s4, s2
	s_add_i32 s7, s5, s4
	s_mul_i32 s6, s3, s2
	s_sub_u32 s28, s42, s6
	s_subb_u32 s29, s43, s7
	v_cmp_lt_i64_e64 s[4:5], s[28:29], 1
	s_and_b64 vcc, exec, s[4:5]
	s_cbranch_vccnz .LBB78_112
; %bb.1:
	v_cmp_gt_u32_e32 vcc, s2, v0
	v_mov_b64_e32 v[2:3], 0
	v_lshlrev_b32_e32 v1, 4, v0
	v_mov_b64_e32 v[4:5], 0
	scratch_store_dword off, v1, off offset:108 ; 4-byte Folded Spill
	s_and_saveexec_b64 s[4:5], vcc
	s_cbranch_execz .LBB78_3
; %bb.2:
	v_lshlrev_b32_e32 v1, 4, v0
	global_load_dwordx4 v[2:5], v1, s[40:41]
.LBB78_3:
	s_or_b64 exec, exec, s[4:5]
	s_load_dword s0, s[0:1], 0x34
	s_waitcnt lgkmcnt(0)
	s_and_b32 s3, s0, 0xffff
	v_add_u32_e32 v6, s3, v0
	v_cmp_gt_u32_e32 vcc, s2, v6
	s_and_saveexec_b64 s[0:1], vcc
	s_cbranch_execz .LBB78_7
; %bb.4:
	s_mov_b64 s[4:5], 0
	v_mov_b32_e32 v7, 0
.LBB78_5:                               ; =>This Inner Loop Header: Depth=1
	v_lshl_add_u64 v[8:9], v[6:7], 4, s[40:41]
	global_load_dwordx4 v[8:11], v[8:9], off
	v_add_u32_e32 v6, s3, v6
	v_cmp_le_u32_e32 vcc, s2, v6
	s_or_b64 s[4:5], vcc, s[4:5]
	s_waitcnt vmcnt(0)
	v_add_f64 v[2:3], v[2:3], v[8:9]
	v_add_f64 v[4:5], v[4:5], v[10:11]
	s_andn2_b64 exec, exec, s[4:5]
	s_cbranch_execnz .LBB78_5
; %bb.6:
	s_or_b64 exec, exec, s[4:5]
.LBB78_7:
	s_or_b64 exec, exec, s[0:1]
	s_waitcnt vmcnt(0)
	v_mov_b32_dpp v8, v2 quad_perm:[1,0,3,2] row_mask:0xf bank_mask:0xf
	v_mov_b32_dpp v9, v3 quad_perm:[1,0,3,2] row_mask:0xf bank_mask:0xf
	;; [unrolled: 1-line block ×4, first 2 shown]
	v_add_f64 v[2:3], v[2:3], v[8:9]
	v_add_f64 v[4:5], v[4:5], v[10:11]
	v_mbcnt_lo_u32_b32 v1, -1, 0
	v_mov_b32_dpp v8, v2 quad_perm:[2,3,0,1] row_mask:0xf bank_mask:0xf
	v_mov_b32_dpp v9, v3 quad_perm:[2,3,0,1] row_mask:0xf bank_mask:0xf
	;; [unrolled: 1-line block ×4, first 2 shown]
	v_add_f64 v[2:3], v[2:3], v[8:9]
	v_add_f64 v[4:5], v[4:5], v[10:11]
	v_mbcnt_hi_u32_b32 v6, -1, v1
	v_mov_b32_dpp v8, v2 row_ror:4 row_mask:0xf bank_mask:0xf
	v_mov_b32_dpp v9, v3 row_ror:4 row_mask:0xf bank_mask:0xf
	;; [unrolled: 1-line block ×4, first 2 shown]
	v_add_f64 v[2:3], v[2:3], v[8:9]
	v_add_f64 v[4:5], v[4:5], v[10:11]
	v_lshlrev_b32_e32 v1, 2, v6
	v_mov_b32_dpp v8, v2 row_ror:8 row_mask:0xf bank_mask:0xf
	v_mov_b32_dpp v9, v3 row_ror:8 row_mask:0xf bank_mask:0xf
	;; [unrolled: 1-line block ×4, first 2 shown]
	v_add_f64 v[2:3], v[2:3], v[8:9]
	v_add_f64 v[4:5], v[4:5], v[10:11]
	v_or_b32_e32 v7, 0xfc, v1
	v_mov_b32_dpp v8, v2 row_bcast:15 row_mask:0xf bank_mask:0xf
	v_mov_b32_dpp v9, v3 row_bcast:15 row_mask:0xf bank_mask:0xf
	;; [unrolled: 1-line block ×4, first 2 shown]
	v_add_f64 v[2:3], v[2:3], v[8:9]
	v_add_f64 v[4:5], v[4:5], v[10:11]
	v_cmp_eq_u32_e64 s[0:1], 0, v6
	v_mov_b32_dpp v8, v2 row_bcast:31 row_mask:0xf bank_mask:0xf
	v_mov_b32_dpp v9, v3 row_bcast:31 row_mask:0xf bank_mask:0xf
	;; [unrolled: 1-line block ×4, first 2 shown]
	v_add_f64 v[2:3], v[2:3], v[8:9]
	v_add_f64 v[4:5], v[4:5], v[10:11]
	ds_bpermute_b32 v2, v7, v2
	ds_bpermute_b32 v3, v7, v3
	;; [unrolled: 1-line block ×4, first 2 shown]
	s_waitcnt lgkmcnt(0)
	scratch_store_dwordx4 off, v[2:5], off offset:92 ; 16-byte Folded Spill
	s_and_saveexec_b64 s[2:3], s[0:1]
	s_cbranch_execz .LBB78_9
; %bb.8:
	scratch_load_dwordx4 v[8:11], off, off offset:92 ; 16-byte Folded Reload
	v_lshrrev_b32_e32 v2, 2, v0
	v_and_b32_e32 v2, 0xf0, v2
	s_waitcnt vmcnt(0)
	ds_write_b128 v2, v[8:11]
.LBB78_9:
	s_or_b64 exec, exec, s[2:3]
	v_cmp_lt_u32_e64 s[2:3], 63, v0
	v_cmp_gt_u32_e64 s[4:5], 64, v0
	s_waitcnt lgkmcnt(0)
	s_barrier
	s_and_saveexec_b64 s[8:9], s[4:5]
	s_cbranch_execz .LBB78_11
; %bb.10:
	v_and_b32_e32 v2, 1, v6
	v_lshlrev_b32_e32 v2, 4, v2
	ds_read_b128 v[2:5], v2
	v_or_b32_e32 v1, 4, v1
	s_waitcnt lgkmcnt(0)
	ds_bpermute_b32 v8, v1, v2
	ds_bpermute_b32 v9, v1, v3
	;; [unrolled: 1-line block ×4, first 2 shown]
	s_waitcnt lgkmcnt(2)
	v_add_f64 v[2:3], v[2:3], v[8:9]
	s_waitcnt lgkmcnt(0)
	v_add_f64 v[4:5], v[4:5], v[10:11]
	scratch_store_dwordx4 off, v[2:5], off offset:92 ; 16-byte Folded Spill
.LBB78_11:
	s_or_b64 exec, exec, s[8:9]
	s_cmp_gt_i32 s33, 0
	s_barrier
	s_cbranch_scc0 .LBB78_112
; %bb.12:
	v_lshlrev_b32_e32 v1, 4, v0
	v_and_b32_e32 v2, 0x3c00, v1
	v_or_b32_e32 v3, v6, v2
	v_lshrrev_b16_e32 v1, 1, v3
	v_add_u32_e32 v4, 64, v3
	v_or_b32_e32 v5, 0x80, v3
	v_add_u32_e32 v7, 0xc0, v3
	v_or_b32_e32 v8, 0x100, v3
	;; [unrolled: 2-line block ×7, first 2 shown]
	v_add_u32_e32 v19, 0x3c0, v3
	v_and_b32_e32 v1, 0x1e30, v1
	scratch_store_dword off, v3, off offset:80 ; 4-byte Folded Spill
	v_lshlrev_b32_e32 v3, 4, v3
	v_add_u32_e32 v1, v1, v3
	scratch_store_dword off, v1, off offset:76 ; 4-byte Folded Spill
	scratch_store_dword off, v4, off offset:112 ; 4-byte Folded Spill
	v_lshrrev_b32_e32 v1, 1, v4
	v_and_b32_e32 v1, 0x1e70, v1
	v_add_u32_e32 v1, v1, v3
	scratch_store_dword off, v1, off        ; 4-byte Folded Spill
	scratch_store_dword off, v5, off offset:116 ; 4-byte Folded Spill
	v_lshrrev_b32_e32 v1, 1, v5
	v_and_b32_e32 v1, 0x1e70, v1
	v_add_u32_e32 v1, v1, v3
	scratch_store_dword off, v1, off offset:4 ; 4-byte Folded Spill
	scratch_store_dword off, v7, off offset:120 ; 4-byte Folded Spill
	v_lshrrev_b32_e32 v1, 1, v7
	v_and_b32_e32 v1, 0x1ef0, v1
	v_add_u32_e32 v1, v1, v3
	scratch_store_dword off, v1, off offset:8 ; 4-byte Folded Spill
	;; [unrolled: 5-line block ×14, first 2 shown]
	v_and_b32_e32 v1, 0x3c0, v0
	v_add_u32_e32 v3, v6, v1
	v_lshlrev_b32_e32 v4, 4, v3
	v_bfe_u32 v3, v3, 1, 27
	v_add_lshl_u32 v4, v3, v4, 4
	v_and_b32_e32 v3, 15, v6
	s_lshl_b64 s[26:27], s[6:7], 4
	v_cmp_ne_u32_e64 s[6:7], 0, v3
	v_cmp_lt_u32_e64 s[8:9], 1, v3
	v_cmp_lt_u32_e64 s[10:11], 3, v3
	;; [unrolled: 1-line block ×3, first 2 shown]
	v_and_b32_e32 v3, 16, v6
	v_min_u32_e32 v1, 64, v1
	v_cmp_ne_u32_e64 s[14:15], 0, v3
	v_lshrrev_b32_e32 v3, 6, v0
	v_or_b32_e32 v1, 63, v1
	v_cmp_eq_u32_e64 s[18:19], v0, v1
	v_lshlrev_b32_e32 v1, 4, v3
	scratch_store_dword off, v1, off offset:172 ; 4-byte Folded Spill
	v_and_b32_e32 v1, 1, v6
	v_cmp_eq_u32_e64 s[22:23], 1, v1
	v_add_u32_e32 v1, -1, v6
	v_and_b32_e32 v5, 64, v6
	v_cmp_lt_i32_e32 vcc, v1, v5
	v_mov_b32_e32 v83, 0
	v_lshlrev_b32_e32 v82, 14, v3
	v_cndmask_b32_e32 v1, v1, v6, vcc
	s_add_u32 s30, s38, s26
	v_cmp_gt_u32_e64 s[20:21], 2, v0
	v_lshlrev_b32_e32 v5, 2, v1
	v_cmp_eq_u32_e64 s[24:25], 0, v0
	v_lshl_add_u64 v[0:1], s[26:27], 0, v[82:83]
	s_addc_u32 s31, s39, s27
	v_cmp_lt_u32_e64 s[16:17], 31, v6
	v_lshlrev_b32_e32 v86, 4, v6
	v_mov_b32_e32 v87, v83
	v_lshl_add_u64 v[70:71], s[36:37], 0, v[0:1]
	v_lshl_add_u64 v[88:89], s[38:39], 0, v[0:1]
	s_movk_i32 s38, 0x1000
	v_lshlrev_b32_e32 v82, 4, v6
	v_lshlrev_b32_e32 v0, 4, v2
	s_mov_b64 s[34:35], 0x8000
	scratch_store_dwordx2 off, v[0:1], off offset:176 ; 8-byte Folded Spill
	s_branch .LBB78_14
.LBB78_13:                              ;   in Loop: Header=BB78_14 Depth=1
	s_waitcnt lgkmcnt(0)
	s_barrier
	scratch_load_dwordx2 v[88:89], off, off offset:84 ; 8-byte Folded Reload
	s_add_u32 s28, s28, 0xfffff800
	s_addc_u32 s29, s29, -1
	s_add_u32 s30, s30, 0x8000
	s_addc_u32 s31, s31, 0
	s_add_i32 s33, s33, -1
	s_cmp_eq_u32 s33, 0
	s_waitcnt vmcnt(1)
	v_lshl_add_u64 v[70:71], v[70:71], 0, s[34:35]
	s_cselect_b64 s[26:27], -1, 0
	s_waitcnt vmcnt(0)
	v_lshl_add_u64 v[88:89], v[88:89], 0, s[34:35]
	v_mov_b64_e32 v[86:87], v[68:69]
	s_andn2_b64 vcc, exec, s[26:27]
	s_cbranch_vccz .LBB78_112
.LBB78_14:                              ; =>This Inner Loop Header: Depth=1
	v_mov_b64_e32 v[0:1], 0x7ff
	v_cmp_gt_i64_e32 vcc, s[28:29], v[0:1]
	scratch_load_dword v0, off, off offset:80 ; 4-byte Folded Reload
	s_mov_b64 s[36:37], -1
	s_waitcnt vmcnt(0)
	v_cmp_gt_u32_e64 s[26:27], s28, v0
	s_cbranch_vccnz .LBB78_48
; %bb.15:                               ;   in Loop: Header=BB78_14 Depth=1
	v_lshl_add_u64 v[0:1], v[70:71], 0, v[86:87]
	v_mov_b64_e32 v[8:9], 0
	v_mov_b64_e32 v[12:13], 0
	;; [unrolled: 1-line block ×3, first 2 shown]
	s_and_saveexec_b64 s[36:37], s[26:27]
	s_cbranch_execz .LBB78_17
; %bb.16:                               ;   in Loop: Header=BB78_14 Depth=1
	global_load_dwordx4 v[10:13], v[0:1], off
.LBB78_17:                              ;   in Loop: Header=BB78_14 Depth=1
	s_or_b64 exec, exec, s[36:37]
	scratch_load_dword v2, off, off offset:112 ; 4-byte Folded Reload
	v_mov_b64_e32 v[6:7], 0
	s_waitcnt vmcnt(0)
	v_cmp_gt_u32_e32 vcc, s28, v2
	s_and_saveexec_b64 s[26:27], vcc
	s_cbranch_execz .LBB78_19
; %bb.18:                               ;   in Loop: Header=BB78_14 Depth=1
	global_load_dwordx4 v[6:9], v[0:1], off offset:1024
.LBB78_19:                              ;   in Loop: Header=BB78_14 Depth=1
	s_or_b64 exec, exec, s[26:27]
	scratch_load_dword v2, off, off offset:116 ; 4-byte Folded Reload
	v_mov_b64_e32 v[16:17], 0
	v_mov_b64_e32 v[20:21], 0
	v_mov_b64_e32 v[18:19], 0
	s_waitcnt vmcnt(0)
	v_cmp_gt_u32_e32 vcc, s28, v2
	s_and_saveexec_b64 s[26:27], vcc
	s_cbranch_execz .LBB78_21
; %bb.20:                               ;   in Loop: Header=BB78_14 Depth=1
	global_load_dwordx4 v[18:21], v[0:1], off offset:2048
.LBB78_21:                              ;   in Loop: Header=BB78_14 Depth=1
	s_or_b64 exec, exec, s[26:27]
	scratch_load_dword v2, off, off offset:120 ; 4-byte Folded Reload
	v_mov_b64_e32 v[14:15], 0
	s_waitcnt vmcnt(0)
	v_cmp_gt_u32_e32 vcc, s28, v2
	s_and_saveexec_b64 s[26:27], vcc
	s_cbranch_execz .LBB78_23
; %bb.22:                               ;   in Loop: Header=BB78_14 Depth=1
	global_load_dwordx4 v[14:17], v[0:1], off offset:3072
.LBB78_23:                              ;   in Loop: Header=BB78_14 Depth=1
	s_or_b64 exec, exec, s[26:27]
	scratch_load_dword v2, off, off offset:124 ; 4-byte Folded Reload
	v_mov_b64_e32 v[24:25], 0
	v_mov_b64_e32 v[28:29], 0
	;; [unrolled: 1-line block ×3, first 2 shown]
	s_waitcnt vmcnt(0)
	v_cmp_gt_u32_e32 vcc, s28, v2
	s_and_saveexec_b64 s[26:27], vcc
	s_cbranch_execz .LBB78_25
; %bb.24:                               ;   in Loop: Header=BB78_14 Depth=1
	v_add_co_u32_e32 v2, vcc, 0x1000, v0
	s_nop 1
	v_addc_co_u32_e32 v3, vcc, 0, v1, vcc
	global_load_dwordx4 v[26:29], v[2:3], off
.LBB78_25:                              ;   in Loop: Header=BB78_14 Depth=1
	s_or_b64 exec, exec, s[26:27]
	scratch_load_dword v2, off, off offset:128 ; 4-byte Folded Reload
	v_mov_b64_e32 v[22:23], 0
	s_waitcnt vmcnt(0)
	v_cmp_gt_u32_e32 vcc, s28, v2
	s_and_saveexec_b64 s[26:27], vcc
	s_cbranch_execz .LBB78_27
; %bb.26:                               ;   in Loop: Header=BB78_14 Depth=1
	v_add_co_u32_e32 v2, vcc, 0x1000, v0
	s_nop 1
	v_addc_co_u32_e32 v3, vcc, 0, v1, vcc
	global_load_dwordx4 v[22:25], v[2:3], off offset:1024
.LBB78_27:                              ;   in Loop: Header=BB78_14 Depth=1
	s_or_b64 exec, exec, s[26:27]
	scratch_load_dword v2, off, off offset:132 ; 4-byte Folded Reload
	v_mov_b64_e32 v[32:33], 0
	v_mov_b64_e32 v[36:37], 0
	;; [unrolled: 1-line block ×3, first 2 shown]
	s_waitcnt vmcnt(0)
	v_cmp_gt_u32_e32 vcc, s28, v2
	s_and_saveexec_b64 s[26:27], vcc
	s_cbranch_execz .LBB78_29
; %bb.28:                               ;   in Loop: Header=BB78_14 Depth=1
	v_add_co_u32_e32 v2, vcc, 0x1000, v0
	s_nop 1
	v_addc_co_u32_e32 v3, vcc, 0, v1, vcc
	global_load_dwordx4 v[34:37], v[2:3], off offset:2048
.LBB78_29:                              ;   in Loop: Header=BB78_14 Depth=1
	s_or_b64 exec, exec, s[26:27]
	scratch_load_dword v2, off, off offset:136 ; 4-byte Folded Reload
	v_mov_b64_e32 v[30:31], 0
	s_waitcnt vmcnt(0)
	v_cmp_gt_u32_e32 vcc, s28, v2
	s_and_saveexec_b64 s[26:27], vcc
	s_cbranch_execz .LBB78_31
; %bb.30:                               ;   in Loop: Header=BB78_14 Depth=1
	v_add_co_u32_e32 v2, vcc, 0x1000, v0
	s_nop 1
	v_addc_co_u32_e32 v3, vcc, 0, v1, vcc
	global_load_dwordx4 v[30:33], v[2:3], off offset:3072
.LBB78_31:                              ;   in Loop: Header=BB78_14 Depth=1
	s_or_b64 exec, exec, s[26:27]
	scratch_load_dword v2, off, off offset:140 ; 4-byte Folded Reload
	v_mov_b64_e32 v[40:41], 0
	v_mov_b64_e32 v[44:45], 0
	;; [unrolled: 1-line block ×3, first 2 shown]
	s_waitcnt vmcnt(0)
	v_cmp_gt_u32_e32 vcc, s28, v2
	s_and_saveexec_b64 s[26:27], vcc
	s_cbranch_execz .LBB78_33
; %bb.32:                               ;   in Loop: Header=BB78_14 Depth=1
	v_add_co_u32_e32 v2, vcc, 0x2000, v0
	s_nop 1
	v_addc_co_u32_e32 v3, vcc, 0, v1, vcc
	global_load_dwordx4 v[42:45], v[2:3], off
.LBB78_33:                              ;   in Loop: Header=BB78_14 Depth=1
	s_or_b64 exec, exec, s[26:27]
	scratch_load_dword v2, off, off offset:144 ; 4-byte Folded Reload
	v_mov_b64_e32 v[38:39], 0
	s_waitcnt vmcnt(0)
	v_cmp_gt_u32_e32 vcc, s28, v2
	s_and_saveexec_b64 s[26:27], vcc
	s_cbranch_execz .LBB78_35
; %bb.34:                               ;   in Loop: Header=BB78_14 Depth=1
	v_add_co_u32_e32 v2, vcc, 0x2000, v0
	s_nop 1
	v_addc_co_u32_e32 v3, vcc, 0, v1, vcc
	global_load_dwordx4 v[38:41], v[2:3], off offset:1024
.LBB78_35:                              ;   in Loop: Header=BB78_14 Depth=1
	s_or_b64 exec, exec, s[26:27]
	scratch_load_dword v2, off, off offset:148 ; 4-byte Folded Reload
	v_mov_b64_e32 v[48:49], 0
	v_mov_b64_e32 v[52:53], 0
	;; [unrolled: 1-line block ×3, first 2 shown]
	s_waitcnt vmcnt(0)
	v_cmp_gt_u32_e32 vcc, s28, v2
	s_and_saveexec_b64 s[26:27], vcc
	s_cbranch_execz .LBB78_37
; %bb.36:                               ;   in Loop: Header=BB78_14 Depth=1
	v_add_co_u32_e32 v2, vcc, 0x2000, v0
	s_nop 1
	v_addc_co_u32_e32 v3, vcc, 0, v1, vcc
	global_load_dwordx4 v[50:53], v[2:3], off offset:2048
.LBB78_37:                              ;   in Loop: Header=BB78_14 Depth=1
	s_or_b64 exec, exec, s[26:27]
	scratch_load_dword v2, off, off offset:152 ; 4-byte Folded Reload
	v_mov_b64_e32 v[46:47], 0
	s_waitcnt vmcnt(0)
	v_cmp_gt_u32_e32 vcc, s28, v2
	s_and_saveexec_b64 s[26:27], vcc
	s_cbranch_execz .LBB78_39
; %bb.38:                               ;   in Loop: Header=BB78_14 Depth=1
	v_add_co_u32_e32 v2, vcc, 0x2000, v0
	s_nop 1
	v_addc_co_u32_e32 v3, vcc, 0, v1, vcc
	global_load_dwordx4 v[46:49], v[2:3], off offset:3072
.LBB78_39:                              ;   in Loop: Header=BB78_14 Depth=1
	s_or_b64 exec, exec, s[26:27]
	scratch_load_dword v2, off, off offset:156 ; 4-byte Folded Reload
	s_waitcnt lgkmcnt(0)
	v_mov_b64_e32 v[56:57], 0
	v_mov_b64_e32 v[60:61], 0
	;; [unrolled: 1-line block ×3, first 2 shown]
	s_waitcnt vmcnt(0)
	v_cmp_gt_u32_e32 vcc, s28, v2
	s_and_saveexec_b64 s[26:27], vcc
	s_cbranch_execz .LBB78_41
; %bb.40:                               ;   in Loop: Header=BB78_14 Depth=1
	v_add_co_u32_e32 v2, vcc, 0x3000, v0
	s_nop 1
	v_addc_co_u32_e32 v3, vcc, 0, v1, vcc
	global_load_dwordx4 v[58:61], v[2:3], off
.LBB78_41:                              ;   in Loop: Header=BB78_14 Depth=1
	s_or_b64 exec, exec, s[26:27]
	scratch_load_dword v2, off, off offset:160 ; 4-byte Folded Reload
	v_mov_b64_e32 v[54:55], 0
	s_waitcnt vmcnt(0)
	v_cmp_gt_u32_e32 vcc, s28, v2
	s_and_saveexec_b64 s[26:27], vcc
	s_cbranch_execz .LBB78_43
; %bb.42:                               ;   in Loop: Header=BB78_14 Depth=1
	v_add_co_u32_e32 v2, vcc, 0x3000, v0
	s_nop 1
	v_addc_co_u32_e32 v3, vcc, 0, v1, vcc
	global_load_dwordx4 v[54:57], v[2:3], off offset:1024
.LBB78_43:                              ;   in Loop: Header=BB78_14 Depth=1
	s_or_b64 exec, exec, s[26:27]
	scratch_load_dword v2, off, off offset:164 ; 4-byte Folded Reload
	v_mov_b64_e32 v[64:65], 0
	v_mov_b64_e32 v[68:69], 0
	;; [unrolled: 1-line block ×3, first 2 shown]
	s_waitcnt vmcnt(0)
	v_cmp_gt_u32_e32 vcc, s28, v2
	s_and_saveexec_b64 s[26:27], vcc
	s_cbranch_execz .LBB78_45
; %bb.44:                               ;   in Loop: Header=BB78_14 Depth=1
	v_add_co_u32_e32 v2, vcc, 0x3000, v0
	s_nop 1
	v_addc_co_u32_e32 v3, vcc, 0, v1, vcc
	global_load_dwordx4 v[66:69], v[2:3], off offset:2048
.LBB78_45:                              ;   in Loop: Header=BB78_14 Depth=1
	s_or_b64 exec, exec, s[26:27]
	scratch_load_dword v2, off, off offset:168 ; 4-byte Folded Reload
	v_mov_b64_e32 v[62:63], 0
	s_waitcnt vmcnt(0)
	v_cmp_gt_u32_e32 vcc, s28, v2
	s_and_saveexec_b64 s[26:27], vcc
	s_cbranch_execz .LBB78_47
; %bb.46:                               ;   in Loop: Header=BB78_14 Depth=1
	v_add_co_u32_e32 v0, vcc, 0x3000, v0
	s_nop 1
	v_addc_co_u32_e32 v1, vcc, 0, v1, vcc
	global_load_dwordx4 v[62:65], v[0:1], off offset:3072
.LBB78_47:                              ;   in Loop: Header=BB78_14 Depth=1
	s_or_b64 exec, exec, s[26:27]
	scratch_load_dword v0, off, off offset:76 ; 4-byte Folded Reload
	s_mov_b64 s[36:37], 0
	s_waitcnt vmcnt(0)
	ds_write_b128 v0, v[10:13]
	scratch_load_dword v0, off, off         ; 4-byte Folded Reload
	s_waitcnt vmcnt(0)
	ds_write_b128 v0, v[6:9] offset:1024
	scratch_load_dword v0, off, off offset:4 ; 4-byte Folded Reload
	s_waitcnt vmcnt(0)
	ds_write_b128 v0, v[18:21] offset:2048
	scratch_load_dword v0, off, off offset:8 ; 4-byte Folded Reload
	;; [unrolled: 3-line block ×14, first 2 shown]
	s_waitcnt vmcnt(0)
	ds_write_b128 v0, v[62:65] offset:15360
	; wave barrier
.LBB78_48:                              ;   in Loop: Header=BB78_14 Depth=1
	s_and_b64 vcc, exec, s[36:37]
	s_cbranch_vccz .LBB78_50
; %bb.49:                               ;   in Loop: Header=BB78_14 Depth=1
	v_lshl_add_u64 v[50:51], v[70:71], 0, v[86:87]
	v_add_co_u32_e32 v30, vcc, 0x1000, v50
	global_load_dwordx4 v[0:3], v[50:51], off
	global_load_dwordx4 v[6:9], v[50:51], off offset:1024
	global_load_dwordx4 v[10:13], v[50:51], off offset:2048
	;; [unrolled: 1-line block ×3, first 2 shown]
	v_addc_co_u32_e32 v31, vcc, 0, v51, vcc
	v_add_co_u32_e32 v46, vcc, 0x2000, v50
	global_load_dwordx4 v[18:21], v[30:31], off
	global_load_dwordx4 v[22:25], v[30:31], off offset:1024
	v_addc_co_u32_e32 v47, vcc, 0, v51, vcc
	v_add_co_u32_e32 v62, vcc, 0x3000, v50
	global_load_dwordx4 v[26:29], v[30:31], off offset:2048
	s_nop 0
	global_load_dwordx4 v[30:33], v[30:31], off offset:3072
	v_addc_co_u32_e32 v63, vcc, 0, v51, vcc
	global_load_dwordx4 v[34:37], v[46:47], off
	global_load_dwordx4 v[38:41], v[46:47], off offset:1024
	global_load_dwordx4 v[42:45], v[46:47], off offset:2048
	s_nop 0
	global_load_dwordx4 v[46:49], v[46:47], off offset:3072
	s_nop 0
	global_load_dwordx4 v[50:53], v[62:63], off
	s_waitcnt lgkmcnt(0)
	global_load_dwordx4 v[54:57], v[62:63], off offset:1024
	global_load_dwordx4 v[58:61], v[62:63], off offset:2048
	s_nop 0
	global_load_dwordx4 v[62:65], v[62:63], off offset:3072
	s_nop 0
	scratch_load_dword v66, off, off offset:76 ; 4-byte Folded Reload
	s_waitcnt vmcnt(0)
	ds_write_b128 v66, v[0:3]
	scratch_load_dword v0, off, off         ; 4-byte Folded Reload
	s_waitcnt vmcnt(0)
	ds_write_b128 v0, v[6:9] offset:1024
	scratch_load_dword v0, off, off offset:4 ; 4-byte Folded Reload
	s_waitcnt vmcnt(0)
	ds_write_b128 v0, v[10:13] offset:2048
	scratch_load_dword v0, off, off offset:8 ; 4-byte Folded Reload
	;; [unrolled: 3-line block ×14, first 2 shown]
	s_waitcnt vmcnt(0)
	ds_write_b128 v0, v[62:65] offset:15360
	; wave barrier
.LBB78_50:                              ;   in Loop: Header=BB78_14 Depth=1
	scratch_store_dwordx2 off, v[70:71], off offset:68 ; 8-byte Folded Spill
	ds_read_b128 v[46:49], v4
	ds_read_b128 v[38:41], v4 offset:16
	ds_read_b128 v[34:37], v4 offset:32
	;; [unrolled: 1-line block ×5, first 2 shown]
	s_waitcnt lgkmcnt(4)
	v_add_f64 v[0:1], v[46:47], v[38:39]
	v_add_f64 v[2:3], v[48:49], v[40:41]
	s_waitcnt lgkmcnt(3)
	v_add_f64 v[0:1], v[0:1], v[34:35]
	v_add_f64 v[2:3], v[2:3], v[36:37]
	;; [unrolled: 3-line block ×5, first 2 shown]
	ds_read_b128 v[62:65], v4 offset:96
	ds_read_b128 v[54:57], v4 offset:112
	;; [unrolled: 1-line block ×10, first 2 shown]
	s_waitcnt lgkmcnt(9)
	v_add_f64 v[0:1], v[0:1], v[62:63]
	v_add_f64 v[2:3], v[2:3], v[64:65]
	s_waitcnt lgkmcnt(8)
	v_add_f64 v[2:3], v[2:3], v[56:57]
	v_add_f64 v[0:1], v[0:1], v[54:55]
	;; [unrolled: 3-line block ×10, first 2 shown]
	s_nop 0
	v_mov_b32_dpp v2, v72 row_shr:1 row_mask:0xf bank_mask:0xf
	v_mov_b32_dpp v0, v70 row_shr:1 row_mask:0xf bank_mask:0xf
	;; [unrolled: 1-line block ×4, first 2 shown]
	s_barrier
	s_and_saveexec_b64 s[26:27], s[6:7]
; %bb.51:                               ;   in Loop: Header=BB78_14 Depth=1
	v_add_f64 v[72:73], v[72:73], v[2:3]
	v_add_f64 v[70:71], v[70:71], v[0:1]
; %bb.52:                               ;   in Loop: Header=BB78_14 Depth=1
	s_or_b64 exec, exec, s[26:27]
	s_nop 0
	v_mov_b32_dpp v0, v70 row_shr:2 row_mask:0xf bank_mask:0xf
	v_mov_b32_dpp v1, v71 row_shr:2 row_mask:0xf bank_mask:0xf
	v_mov_b32_dpp v2, v72 row_shr:2 row_mask:0xf bank_mask:0xf
	v_mov_b32_dpp v3, v73 row_shr:2 row_mask:0xf bank_mask:0xf
	s_and_saveexec_b64 s[26:27], s[8:9]
; %bb.53:                               ;   in Loop: Header=BB78_14 Depth=1
	v_add_f64 v[72:73], v[72:73], v[2:3]
	v_add_f64 v[70:71], v[70:71], v[0:1]
; %bb.54:                               ;   in Loop: Header=BB78_14 Depth=1
	s_or_b64 exec, exec, s[26:27]
	s_nop 0
	v_mov_b32_dpp v0, v70 row_shr:4 row_mask:0xf bank_mask:0xf
	v_mov_b32_dpp v1, v71 row_shr:4 row_mask:0xf bank_mask:0xf
	v_mov_b32_dpp v2, v72 row_shr:4 row_mask:0xf bank_mask:0xf
	v_mov_b32_dpp v3, v73 row_shr:4 row_mask:0xf bank_mask:0xf
	;; [unrolled: 11-line block ×3, first 2 shown]
	s_and_saveexec_b64 s[26:27], s[12:13]
; %bb.57:                               ;   in Loop: Header=BB78_14 Depth=1
	v_add_f64 v[72:73], v[72:73], v[2:3]
	v_add_f64 v[70:71], v[70:71], v[0:1]
; %bb.58:                               ;   in Loop: Header=BB78_14 Depth=1
	s_or_b64 exec, exec, s[26:27]
	s_nop 0
	v_mov_b32_dpp v0, v70 row_bcast:15 row_mask:0xf bank_mask:0xf
	v_mov_b32_dpp v1, v71 row_bcast:15 row_mask:0xf bank_mask:0xf
	;; [unrolled: 1-line block ×4, first 2 shown]
	s_and_saveexec_b64 s[26:27], s[14:15]
; %bb.59:                               ;   in Loop: Header=BB78_14 Depth=1
	v_add_f64 v[72:73], v[72:73], v[2:3]
	v_add_f64 v[70:71], v[70:71], v[0:1]
; %bb.60:                               ;   in Loop: Header=BB78_14 Depth=1
	s_or_b64 exec, exec, s[26:27]
	s_nop 0
	v_mov_b32_dpp v0, v70 row_bcast:31 row_mask:0xf bank_mask:0xf
	v_mov_b32_dpp v1, v71 row_bcast:31 row_mask:0xf bank_mask:0xf
	;; [unrolled: 1-line block ×4, first 2 shown]
	s_and_saveexec_b64 s[26:27], s[16:17]
; %bb.61:                               ;   in Loop: Header=BB78_14 Depth=1
	v_add_f64 v[72:73], v[72:73], v[2:3]
	v_add_f64 v[70:71], v[70:71], v[0:1]
; %bb.62:                               ;   in Loop: Header=BB78_14 Depth=1
	s_or_b64 exec, exec, s[26:27]
	s_and_saveexec_b64 s[26:27], s[18:19]
	s_cbranch_execz .LBB78_64
; %bb.63:                               ;   in Loop: Header=BB78_14 Depth=1
	scratch_load_dword v0, off, off offset:172 ; 4-byte Folded Reload
	s_waitcnt vmcnt(0)
	ds_write_b128 v0, v[70:73]
.LBB78_64:                              ;   in Loop: Header=BB78_14 Depth=1
	s_or_b64 exec, exec, s[26:27]
	s_waitcnt lgkmcnt(0)
	s_barrier
	s_and_saveexec_b64 s[26:27], s[20:21]
	s_cbranch_execz .LBB78_68
; %bb.65:                               ;   in Loop: Header=BB78_14 Depth=1
	scratch_load_dword v0, off, off offset:108 ; 4-byte Folded Reload
	s_waitcnt vmcnt(0)
	ds_read_b128 v[0:3], v0
	s_waitcnt lgkmcnt(0)
	s_nop 0
	v_mov_b32_dpp v74, v0 row_shr:1 row_mask:0xf bank_mask:0xf
	v_mov_b32_dpp v75, v1 row_shr:1 row_mask:0xf bank_mask:0xf
	;; [unrolled: 1-line block ×4, first 2 shown]
	s_and_saveexec_b64 s[36:37], s[22:23]
; %bb.66:                               ;   in Loop: Header=BB78_14 Depth=1
	v_add_f64 v[2:3], v[2:3], v[76:77]
	v_add_f64 v[0:1], v[0:1], v[74:75]
; %bb.67:                               ;   in Loop: Header=BB78_14 Depth=1
	s_or_b64 exec, exec, s[36:37]
	scratch_load_dword v74, off, off offset:108 ; 4-byte Folded Reload
	s_waitcnt vmcnt(0)
	ds_write_b128 v74, v[0:3]
.LBB78_68:                              ;   in Loop: Header=BB78_14 Depth=1
	s_or_b64 exec, exec, s[26:27]
	v_mov_b64_e32 v[0:1], 0x800
	v_cmp_lt_i64_e32 vcc, s[28:29], v[0:1]
	v_mov_b64_e32 v[76:77], 0
	v_mov_b64_e32 v[74:75], 0
	s_waitcnt lgkmcnt(0)
	s_barrier
	s_and_saveexec_b64 s[26:27], s[2:3]
	s_cbranch_execz .LBB78_70
; %bb.69:                               ;   in Loop: Header=BB78_14 Depth=1
	scratch_load_dword v0, off, off offset:172 ; 4-byte Folded Reload
	s_waitcnt vmcnt(0)
	v_add_u32_e32 v0, -16, v0
	ds_read_b128 v[74:77], v0
	s_waitcnt lgkmcnt(0)
	v_add_f64 v[70:71], v[70:71], v[74:75]
	v_add_f64 v[72:73], v[72:73], v[76:77]
.LBB78_70:                              ;   in Loop: Header=BB78_14 Depth=1
	s_or_b64 exec, exec, s[26:27]
	ds_bpermute_b32 v70, v5, v70
	ds_bpermute_b32 v71, v5, v71
	;; [unrolled: 1-line block ×4, first 2 shown]
	s_and_saveexec_b64 s[26:27], s[4:5]
	s_cbranch_execz .LBB78_74
; %bb.71:                               ;   in Loop: Header=BB78_14 Depth=1
	ds_read_b128 v[0:3], v83 offset:16
	s_and_saveexec_b64 s[36:37], s[24:25]
	s_cbranch_execz .LBB78_73
; %bb.72:                               ;   in Loop: Header=BB78_14 Depth=1
	scratch_load_dwordx4 v[78:81], off, off offset:92 ; 16-byte Folded Reload
	s_waitcnt vmcnt(0)
	ds_write_b128 v83, v[78:81] offset:16
.LBB78_73:                              ;   in Loop: Header=BB78_14 Depth=1
	s_or_b64 exec, exec, s[36:37]
	scratch_load_dwordx4 v[78:81], off, off offset:92 ; 16-byte Folded Reload
	s_waitcnt vmcnt(0) lgkmcnt(0)
	v_add_f64 v[78:79], v[78:79], v[0:1]
	v_add_f64 v[80:81], v[80:81], v[2:3]
	scratch_store_dwordx4 off, v[78:81], off offset:92 ; 16-byte Folded Spill
.LBB78_74:                              ;   in Loop: Header=BB78_14 Depth=1
	s_or_b64 exec, exec, s[26:27]
	s_waitcnt lgkmcnt(0)
	s_barrier
	ds_read_b128 v[0:3], v83 offset:16
	v_cndmask_b32_e64 v73, v73, v77, s[0:1]
	v_cndmask_b32_e64 v72, v72, v76, s[0:1]
	;; [unrolled: 1-line block ×4, first 2 shown]
	v_add_f64 v[70:71], v[70:71], v[46:47]
	v_add_f64 v[72:73], v[72:73], v[48:49]
	v_cndmask_b32_e64 v49, v73, v49, s[24:25]
	v_cndmask_b32_e64 v48, v72, v48, s[24:25]
	;; [unrolled: 1-line block ×4, first 2 shown]
	scratch_store_dwordx2 off, v[82:83], off offset:60 ; 8-byte Folded Spill
	s_waitcnt lgkmcnt(0)
	v_add_f64 v[82:83], v[0:1], v[46:47]
	v_add_f64 v[84:85], v[2:3], v[48:49]
	;; [unrolled: 1-line block ×32, first 2 shown]
	s_and_b64 vcc, exec, vcc
	v_mov_b64_e32 v[68:69], v[86:87]
	v_lshl_add_u64 v[126:127], v[88:89], 0, v[86:87]
	s_barrier
	scratch_store_dwordx2 off, v[88:89], off offset:84 ; 8-byte Folded Spill
	s_cbranch_vccz .LBB78_110
; %bb.75:                               ;   in Loop: Header=BB78_14 Depth=1
	ds_write_b128 v4, v[82:85]
	ds_write_b128 v4, v[78:81] offset:16
	ds_write_b128 v4, v[74:77] offset:32
	;; [unrolled: 1-line block ×15, first 2 shown]
	; wave barrier
	scratch_load_dword v0, off, off         ; 4-byte Folded Reload
	scratch_load_dword v54, off, off offset:4 ; 4-byte Folded Reload
	s_waitcnt vmcnt(1)
	ds_read_b128 v[0:3], v0 offset:1024
	s_waitcnt vmcnt(0)
	ds_read_b128 v[122:125], v54 offset:2048
	scratch_load_dword v54, off, off offset:8 ; 4-byte Folded Reload
	s_waitcnt vmcnt(0)
	ds_read_b128 v[118:121], v54 offset:3072
	scratch_load_dword v54, off, off offset:12 ; 4-byte Folded Reload
	;; [unrolled: 3-line block ×9, first 2 shown]
	s_waitcnt vmcnt(0)
	v_cmp_gt_u32_e32 vcc, s28, v54
	scratch_load_dword v54, off, off offset:40 ; 4-byte Folded Reload
	s_waitcnt vmcnt(0)
	ds_read_b128 v[86:89], v54 offset:11264
	scratch_load_dword v54, off, off offset:44 ; 4-byte Folded Reload
	s_waitcnt vmcnt(0)
	ds_read_b128 v[62:65], v54 offset:12288
	;; [unrolled: 3-line block ×3, first 2 shown]
	s_waitcnt lgkmcnt(0)
	scratch_store_dwordx4 off, v[54:57], off offset:200 ; 16-byte Folded Spill
	scratch_load_dword v54, off, off offset:52 ; 4-byte Folded Reload
	s_waitcnt vmcnt(0)
	ds_read_b128 v[54:57], v54 offset:14336
	s_waitcnt lgkmcnt(0)
	scratch_store_dwordx4 off, v[54:57], off offset:184 ; 16-byte Folded Spill
	scratch_load_dword v54, off, off offset:56 ; 4-byte Folded Reload
	s_waitcnt vmcnt(0)
	ds_read_b128 v[54:57], v54 offset:15360
	s_and_saveexec_b64 s[26:27], vcc
	s_cbranch_execz .LBB78_77
; %bb.76:                               ;   in Loop: Header=BB78_14 Depth=1
	scratch_load_dword v58, off, off offset:76 ; 4-byte Folded Reload
	s_waitcnt vmcnt(0)
	ds_read_b128 v[58:61], v58
	s_waitcnt lgkmcnt(0)
	global_store_dwordx4 v[126:127], v[58:61], off
.LBB78_77:                              ;   in Loop: Header=BB78_14 Depth=1
	s_or_b64 exec, exec, s[26:27]
	scratch_load_dword v58, off, off offset:112 ; 4-byte Folded Reload
	s_waitcnt vmcnt(0)
	v_cmp_gt_u32_e32 vcc, s28, v58
	s_and_saveexec_b64 s[26:27], vcc
	s_cbranch_execz .LBB78_79
; %bb.78:                               ;   in Loop: Header=BB78_14 Depth=1
	global_store_dwordx4 v[126:127], v[0:3], off offset:1024
.LBB78_79:                              ;   in Loop: Header=BB78_14 Depth=1
	s_or_b64 exec, exec, s[26:27]
	scratch_load_dword v0, off, off offset:116 ; 4-byte Folded Reload
	s_waitcnt vmcnt(0)
	v_cmp_gt_u32_e32 vcc, s28, v0
	s_and_saveexec_b64 s[26:27], vcc
	s_cbranch_execz .LBB78_81
; %bb.80:                               ;   in Loop: Header=BB78_14 Depth=1
	global_store_dwordx4 v[126:127], v[122:125], off offset:2048
.LBB78_81:                              ;   in Loop: Header=BB78_14 Depth=1
	;; [unrolled: 9-line block ×3, first 2 shown]
	s_or_b64 exec, exec, s[26:27]
	scratch_load_dword v0, off, off offset:124 ; 4-byte Folded Reload
	s_waitcnt vmcnt(0)
	v_cmp_gt_u32_e32 vcc, s28, v0
	s_and_saveexec_b64 s[26:27], vcc
	s_cbranch_execz .LBB78_85
; %bb.84:                               ;   in Loop: Header=BB78_14 Depth=1
	v_add_co_u32_e32 v0, vcc, 0x1000, v126
	s_nop 1
	v_addc_co_u32_e32 v1, vcc, 0, v127, vcc
	global_store_dwordx4 v[0:1], v[114:117], off
.LBB78_85:                              ;   in Loop: Header=BB78_14 Depth=1
	s_or_b64 exec, exec, s[26:27]
	scratch_load_dword v0, off, off offset:128 ; 4-byte Folded Reload
	s_waitcnt vmcnt(0)
	v_cmp_gt_u32_e32 vcc, s28, v0
	s_and_saveexec_b64 s[26:27], vcc
	s_cbranch_execz .LBB78_87
; %bb.86:                               ;   in Loop: Header=BB78_14 Depth=1
	v_add_co_u32_e32 v0, vcc, 0x1000, v126
	s_nop 1
	v_addc_co_u32_e32 v1, vcc, 0, v127, vcc
	global_store_dwordx4 v[0:1], v[110:113], off offset:1024
.LBB78_87:                              ;   in Loop: Header=BB78_14 Depth=1
	s_or_b64 exec, exec, s[26:27]
	scratch_load_dword v0, off, off offset:132 ; 4-byte Folded Reload
	s_waitcnt vmcnt(0)
	v_cmp_gt_u32_e32 vcc, s28, v0
	s_and_saveexec_b64 s[26:27], vcc
	s_cbranch_execz .LBB78_89
; %bb.88:                               ;   in Loop: Header=BB78_14 Depth=1
	v_add_co_u32_e32 v0, vcc, 0x1000, v126
	s_nop 1
	v_addc_co_u32_e32 v1, vcc, 0, v127, vcc
	global_store_dwordx4 v[0:1], v[106:109], off offset:2048
.LBB78_89:                              ;   in Loop: Header=BB78_14 Depth=1
	;; [unrolled: 12-line block ×3, first 2 shown]
	s_or_b64 exec, exec, s[26:27]
	scratch_load_dword v0, off, off offset:140 ; 4-byte Folded Reload
	s_waitcnt vmcnt(0)
	v_cmp_gt_u32_e32 vcc, s28, v0
	s_and_saveexec_b64 s[26:27], vcc
	s_cbranch_execz .LBB78_93
; %bb.92:                               ;   in Loop: Header=BB78_14 Depth=1
	v_add_co_u32_e32 v0, vcc, 0x2000, v126
	s_nop 1
	v_addc_co_u32_e32 v1, vcc, 0, v127, vcc
	global_store_dwordx4 v[0:1], v[98:101], off
.LBB78_93:                              ;   in Loop: Header=BB78_14 Depth=1
	s_or_b64 exec, exec, s[26:27]
	scratch_load_dword v0, off, off offset:144 ; 4-byte Folded Reload
	s_waitcnt vmcnt(0)
	v_cmp_gt_u32_e32 vcc, s28, v0
	s_and_saveexec_b64 s[26:27], vcc
	s_cbranch_execz .LBB78_95
; %bb.94:                               ;   in Loop: Header=BB78_14 Depth=1
	v_add_co_u32_e32 v0, vcc, 0x2000, v126
	s_nop 1
	v_addc_co_u32_e32 v1, vcc, 0, v127, vcc
	global_store_dwordx4 v[0:1], v[94:97], off offset:1024
.LBB78_95:                              ;   in Loop: Header=BB78_14 Depth=1
	s_or_b64 exec, exec, s[26:27]
	scratch_load_dword v0, off, off offset:148 ; 4-byte Folded Reload
	s_waitcnt vmcnt(0)
	v_cmp_gt_u32_e32 vcc, s28, v0
	s_and_saveexec_b64 s[26:27], vcc
	s_cbranch_execz .LBB78_97
; %bb.96:                               ;   in Loop: Header=BB78_14 Depth=1
	v_add_co_u32_e32 v0, vcc, 0x2000, v126
	s_nop 1
	v_addc_co_u32_e32 v1, vcc, 0, v127, vcc
	global_store_dwordx4 v[0:1], v[90:93], off offset:2048
.LBB78_97:                              ;   in Loop: Header=BB78_14 Depth=1
	;; [unrolled: 12-line block ×3, first 2 shown]
	s_or_b64 exec, exec, s[26:27]
	scratch_load_dword v0, off, off offset:156 ; 4-byte Folded Reload
	s_waitcnt vmcnt(0)
	v_cmp_gt_u32_e32 vcc, s28, v0
	s_and_saveexec_b64 s[26:27], vcc
	s_cbranch_execz .LBB78_101
; %bb.100:                              ;   in Loop: Header=BB78_14 Depth=1
	v_add_co_u32_e32 v0, vcc, 0x3000, v126
	s_nop 1
	v_addc_co_u32_e32 v1, vcc, 0, v127, vcc
	global_store_dwordx4 v[0:1], v[62:65], off
.LBB78_101:                             ;   in Loop: Header=BB78_14 Depth=1
	s_or_b64 exec, exec, s[26:27]
	scratch_load_dword v0, off, off offset:160 ; 4-byte Folded Reload
	s_waitcnt vmcnt(0)
	v_cmp_gt_u32_e32 vcc, s28, v0
	s_and_saveexec_b64 s[26:27], vcc
	s_cbranch_execz .LBB78_103
; %bb.102:                              ;   in Loop: Header=BB78_14 Depth=1
	scratch_load_dwordx4 v[58:61], off, off offset:200 ; 16-byte Folded Reload
	v_add_co_u32_e32 v0, vcc, 0x3000, v126
	s_nop 1
	v_addc_co_u32_e32 v1, vcc, 0, v127, vcc
	s_waitcnt vmcnt(0)
	global_store_dwordx4 v[0:1], v[58:61], off offset:1024
.LBB78_103:                             ;   in Loop: Header=BB78_14 Depth=1
	s_or_b64 exec, exec, s[26:27]
	scratch_load_dword v0, off, off offset:164 ; 4-byte Folded Reload
	s_waitcnt vmcnt(0)
	v_cmp_gt_u32_e32 vcc, s28, v0
	s_and_saveexec_b64 s[26:27], vcc
	s_cbranch_execz .LBB78_105
; %bb.104:                              ;   in Loop: Header=BB78_14 Depth=1
	scratch_load_dwordx4 v[58:61], off, off offset:184 ; 16-byte Folded Reload
	v_add_co_u32_e32 v0, vcc, 0x3000, v126
	s_nop 1
	v_addc_co_u32_e32 v1, vcc, 0, v127, vcc
	s_waitcnt vmcnt(0)
	global_store_dwordx4 v[0:1], v[58:61], off offset:2048
.LBB78_105:                             ;   in Loop: Header=BB78_14 Depth=1
	s_or_b64 exec, exec, s[26:27]
	scratch_load_dword v0, off, off offset:168 ; 4-byte Folded Reload
	s_waitcnt vmcnt(0)
	v_cmp_gt_u32_e64 s[26:27], s28, v0
	s_branch .LBB78_111
.LBB78_106:                             ;   in Loop: Header=BB78_14 Depth=1
	ds_write_b128 v4, v[82:85]
	ds_write_b128 v4, v[78:81] offset:16
	ds_write_b128 v4, v[74:77] offset:32
	;; [unrolled: 1-line block ×15, first 2 shown]
	; wave barrier
	scratch_load_dword v38, off, off offset:32 ; 4-byte Folded Reload
	scratch_load_dword v42, off, off offset:36 ; 4-byte Folded Reload
	;; [unrolled: 1-line block ×4, first 2 shown]
	s_waitcnt lgkmcnt(14)
	scratch_load_dword v54, off, off offset:48 ; 4-byte Folded Reload
	scratch_load_dwordx2 v[82:83], off, off offset:60 ; 8-byte Folded Reload
	scratch_load_dword v0, off, off offset:76 ; 4-byte Folded Reload
	scratch_load_dword v6, off, off         ; 4-byte Folded Reload
	scratch_load_dword v10, off, off offset:4 ; 4-byte Folded Reload
	scratch_load_dword v14, off, off offset:8 ; 4-byte Folded Reload
	scratch_load_dword v18, off, off offset:12 ; 4-byte Folded Reload
	scratch_load_dword v22, off, off offset:16 ; 4-byte Folded Reload
	scratch_load_dword v26, off, off offset:20 ; 4-byte Folded Reload
	scratch_load_dword v30, off, off offset:24 ; 4-byte Folded Reload
	scratch_load_dword v34, off, off offset:28 ; 4-byte Folded Reload
	s_or_b64 s[26:27], s[26:27], exec
	scratch_load_dwordx2 v[70:71], off, off offset:176 ; 8-byte Folded Reload
	s_waitcnt vmcnt(15)
	ds_read_b128 v[38:41], v38 offset:9216
	s_waitcnt vmcnt(14)
	ds_read_b128 v[42:45], v42 offset:10240
	;; [unrolled: 2-line block ×5, first 2 shown]
	scratch_load_dword v54, off, off offset:52 ; 4-byte Folded Reload
	s_waitcnt vmcnt(10)
	ds_read_b128 v[0:3], v0
	s_waitcnt vmcnt(9)
	ds_read_b128 v[6:9], v6 offset:1024
	s_waitcnt vmcnt(8)
	ds_read_b128 v[10:13], v10 offset:2048
	;; [unrolled: 2-line block ×8, first 2 shown]
	v_lshl_add_u64 v[66:67], s[30:31], 0, v[82:83]
	s_waitcnt vmcnt(1)
	v_mov_b32_e32 v71, v83
	v_mov_b32_e32 v72, v70
	v_lshl_add_u64 v[66:67], v[66:67], 0, v[70:71]
	scratch_store_dwordx2 off, v[72:73], off offset:176 ; 8-byte Folded Spill
	s_waitcnt vmcnt(1)
	ds_read_b128 v[62:65], v54 offset:14336
	scratch_load_dword v54, off, off offset:56 ; 4-byte Folded Reload
	s_waitcnt vmcnt(0)
	ds_read_b128 v[54:57], v54 offset:15360
	s_waitcnt lgkmcnt(10)
	global_store_dwordx4 v[126:127], v[0:3], off
	s_waitcnt lgkmcnt(9)
	global_store_dwordx4 v[126:127], v[6:9], off offset:1024
	s_waitcnt lgkmcnt(8)
	global_store_dwordx4 v[126:127], v[10:13], off offset:2048
	;; [unrolled: 2-line block ×3, first 2 shown]
	v_add_co_u32_e32 v0, vcc, s38, v126
	s_nop 1
	v_addc_co_u32_e32 v1, vcc, 0, v127, vcc
	s_waitcnt lgkmcnt(6)
	global_store_dwordx4 v[0:1], v[18:21], off
	s_waitcnt lgkmcnt(5)
	global_store_dwordx4 v[0:1], v[22:25], off offset:1024
	s_waitcnt lgkmcnt(4)
	global_store_dwordx4 v[0:1], v[26:29], off offset:2048
	;; [unrolled: 2-line block ×3, first 2 shown]
	v_add_co_u32_e32 v0, vcc, 0x2000, v126
	s_nop 1
	v_addc_co_u32_e32 v1, vcc, 0, v127, vcc
	s_waitcnt lgkmcnt(2)
	global_store_dwordx4 v[0:1], v[34:37], off
	global_store_dwordx4 v[0:1], v[38:41], off offset:1024
	global_store_dwordx4 v[0:1], v[42:45], off offset:2048
	;; [unrolled: 1-line block ×3, first 2 shown]
	v_add_co_u32_e32 v0, vcc, 0x3000, v126
	s_nop 1
	v_addc_co_u32_e32 v1, vcc, 0, v127, vcc
	v_mov_b64_e32 v[126:127], v[66:67]
	global_store_dwordx4 v[0:1], v[50:53], off
	global_store_dwordx4 v[0:1], v[58:61], off offset:1024
	s_waitcnt lgkmcnt(1)
	global_store_dwordx4 v[0:1], v[62:65], off offset:2048
	scratch_load_dwordx2 v[70:71], off, off offset:68 ; 8-byte Folded Reload
	s_and_saveexec_b64 s[36:37], s[26:27]
	s_cbranch_execz .LBB78_108
.LBB78_107:                             ;   in Loop: Header=BB78_14 Depth=1
	v_add_co_u32_e32 v0, vcc, 0x3000, v126
	s_nop 1
	v_addc_co_u32_e32 v1, vcc, 0, v127, vcc
	s_waitcnt lgkmcnt(0)
	global_store_dwordx4 v[0:1], v[54:57], off offset:3072
.LBB78_108:                             ;   in Loop: Header=BB78_14 Depth=1
	s_or_b64 exec, exec, s[36:37]
	v_mov_b64_e32 v[0:1], 0x801
	v_cmp_lt_i64_e32 vcc, s[28:29], v[0:1]
	s_cbranch_vccz .LBB78_13
; %bb.109:
                                        ; implicit-def: $sgpr28_sgpr29
                                        ; implicit-def: $sgpr30_sgpr31
                                        ; implicit-def: $sgpr33
                                        ; implicit-def: $vgpr70_vgpr71
                                        ; implicit-def: $vgpr88_vgpr89
	v_mov_b64_e32 v[86:87], v[68:69]
	s_branch .LBB78_112
.LBB78_110:                             ;   in Loop: Header=BB78_14 Depth=1
	s_mov_b64 s[26:27], 0
                                        ; implicit-def: $vgpr56_vgpr57
	s_cbranch_execnz .LBB78_106
.LBB78_111:                             ;   in Loop: Header=BB78_14 Depth=1
	scratch_load_dwordx2 v[82:83], off, off offset:60 ; 8-byte Folded Reload
	scratch_load_dwordx2 v[70:71], off, off offset:68 ; 8-byte Folded Reload
	s_and_saveexec_b64 s[36:37], s[26:27]
	s_cbranch_execnz .LBB78_107
	s_branch .LBB78_108
.LBB78_112:
	s_endpgm
	.section	.rodata,"a",@progbits
	.p2align	6, 0x0
	.amdhsa_kernel _ZN2at4cuda3cub17final_scan_kernelILi128ELi16EN3c107complexIdEEEEvPKT1_PS6_S9_li
		.amdhsa_group_segment_fixed_size 33792
		.amdhsa_private_segment_fixed_size 220
		.amdhsa_kernarg_size 296
		.amdhsa_user_sgpr_count 2
		.amdhsa_user_sgpr_dispatch_ptr 0
		.amdhsa_user_sgpr_queue_ptr 0
		.amdhsa_user_sgpr_kernarg_segment_ptr 1
		.amdhsa_user_sgpr_dispatch_id 0
		.amdhsa_user_sgpr_kernarg_preload_length 0
		.amdhsa_user_sgpr_kernarg_preload_offset 0
		.amdhsa_user_sgpr_private_segment_size 0
		.amdhsa_uses_dynamic_stack 0
		.amdhsa_enable_private_segment 1
		.amdhsa_system_sgpr_workgroup_id_x 1
		.amdhsa_system_sgpr_workgroup_id_y 0
		.amdhsa_system_sgpr_workgroup_id_z 0
		.amdhsa_system_sgpr_workgroup_info 0
		.amdhsa_system_vgpr_workitem_id 0
		.amdhsa_next_free_vgpr 128
		.amdhsa_next_free_sgpr 44
		.amdhsa_accum_offset 128
		.amdhsa_reserve_vcc 1
		.amdhsa_float_round_mode_32 0
		.amdhsa_float_round_mode_16_64 0
		.amdhsa_float_denorm_mode_32 3
		.amdhsa_float_denorm_mode_16_64 3
		.amdhsa_dx10_clamp 1
		.amdhsa_ieee_mode 1
		.amdhsa_fp16_overflow 0
		.amdhsa_tg_split 0
		.amdhsa_exception_fp_ieee_invalid_op 0
		.amdhsa_exception_fp_denorm_src 0
		.amdhsa_exception_fp_ieee_div_zero 0
		.amdhsa_exception_fp_ieee_overflow 0
		.amdhsa_exception_fp_ieee_underflow 0
		.amdhsa_exception_fp_ieee_inexact 0
		.amdhsa_exception_int_div_zero 0
	.end_amdhsa_kernel
	.section	.text._ZN2at4cuda3cub17final_scan_kernelILi128ELi16EN3c107complexIdEEEEvPKT1_PS6_S9_li,"axG",@progbits,_ZN2at4cuda3cub17final_scan_kernelILi128ELi16EN3c107complexIdEEEEvPKT1_PS6_S9_li,comdat
.Lfunc_end78:
	.size	_ZN2at4cuda3cub17final_scan_kernelILi128ELi16EN3c107complexIdEEEEvPKT1_PS6_S9_li, .Lfunc_end78-_ZN2at4cuda3cub17final_scan_kernelILi128ELi16EN3c107complexIdEEEEvPKT1_PS6_S9_li
                                        ; -- End function
	.set _ZN2at4cuda3cub17final_scan_kernelILi128ELi16EN3c107complexIdEEEEvPKT1_PS6_S9_li.num_vgpr, 128
	.set _ZN2at4cuda3cub17final_scan_kernelILi128ELi16EN3c107complexIdEEEEvPKT1_PS6_S9_li.num_agpr, 0
	.set _ZN2at4cuda3cub17final_scan_kernelILi128ELi16EN3c107complexIdEEEEvPKT1_PS6_S9_li.numbered_sgpr, 44
	.set _ZN2at4cuda3cub17final_scan_kernelILi128ELi16EN3c107complexIdEEEEvPKT1_PS6_S9_li.num_named_barrier, 0
	.set _ZN2at4cuda3cub17final_scan_kernelILi128ELi16EN3c107complexIdEEEEvPKT1_PS6_S9_li.private_seg_size, 220
	.set _ZN2at4cuda3cub17final_scan_kernelILi128ELi16EN3c107complexIdEEEEvPKT1_PS6_S9_li.uses_vcc, 1
	.set _ZN2at4cuda3cub17final_scan_kernelILi128ELi16EN3c107complexIdEEEEvPKT1_PS6_S9_li.uses_flat_scratch, 0
	.set _ZN2at4cuda3cub17final_scan_kernelILi128ELi16EN3c107complexIdEEEEvPKT1_PS6_S9_li.has_dyn_sized_stack, 0
	.set _ZN2at4cuda3cub17final_scan_kernelILi128ELi16EN3c107complexIdEEEEvPKT1_PS6_S9_li.has_recursion, 0
	.set _ZN2at4cuda3cub17final_scan_kernelILi128ELi16EN3c107complexIdEEEEvPKT1_PS6_S9_li.has_indirect_call, 0
	.section	.AMDGPU.csdata,"",@progbits
; Kernel info:
; codeLenInByte = 7168
; TotalNumSgprs: 50
; NumVgprs: 128
; NumAgprs: 0
; TotalNumVgprs: 128
; ScratchSize: 220
; MemoryBound: 1
; FloatMode: 240
; IeeeMode: 1
; LDSByteSize: 33792 bytes/workgroup (compile time only)
; SGPRBlocks: 6
; VGPRBlocks: 15
; NumSGPRsForWavesPerEU: 50
; NumVGPRsForWavesPerEU: 128
; AccumOffset: 128
; Occupancy: 4
; WaveLimiterHint : 1
; COMPUTE_PGM_RSRC2:SCRATCH_EN: 1
; COMPUTE_PGM_RSRC2:USER_SGPR: 2
; COMPUTE_PGM_RSRC2:TRAP_HANDLER: 0
; COMPUTE_PGM_RSRC2:TGID_X_EN: 1
; COMPUTE_PGM_RSRC2:TGID_Y_EN: 0
; COMPUTE_PGM_RSRC2:TGID_Z_EN: 0
; COMPUTE_PGM_RSRC2:TIDIG_COMP_CNT: 0
; COMPUTE_PGM_RSRC3_GFX90A:ACCUM_OFFSET: 31
; COMPUTE_PGM_RSRC3_GFX90A:TG_SPLIT: 0
	.section	.text._ZN7rocprim17ROCPRIM_304000_NS6detail31init_lookback_scan_state_kernelINS1_19lookback_scan_stateIN3c107complexIdEELb1ELb0EEEEEvT_jjPNS8_10value_typeE,"axG",@progbits,_ZN7rocprim17ROCPRIM_304000_NS6detail31init_lookback_scan_state_kernelINS1_19lookback_scan_stateIN3c107complexIdEELb1ELb0EEEEEvT_jjPNS8_10value_typeE,comdat
	.protected	_ZN7rocprim17ROCPRIM_304000_NS6detail31init_lookback_scan_state_kernelINS1_19lookback_scan_stateIN3c107complexIdEELb1ELb0EEEEEvT_jjPNS8_10value_typeE ; -- Begin function _ZN7rocprim17ROCPRIM_304000_NS6detail31init_lookback_scan_state_kernelINS1_19lookback_scan_stateIN3c107complexIdEELb1ELb0EEEEEvT_jjPNS8_10value_typeE
	.globl	_ZN7rocprim17ROCPRIM_304000_NS6detail31init_lookback_scan_state_kernelINS1_19lookback_scan_stateIN3c107complexIdEELb1ELb0EEEEEvT_jjPNS8_10value_typeE
	.p2align	8
	.type	_ZN7rocprim17ROCPRIM_304000_NS6detail31init_lookback_scan_state_kernelINS1_19lookback_scan_stateIN3c107complexIdEELb1ELb0EEEEEvT_jjPNS8_10value_typeE,@function
_ZN7rocprim17ROCPRIM_304000_NS6detail31init_lookback_scan_state_kernelINS1_19lookback_scan_stateIN3c107complexIdEELb1ELb0EEEEEvT_jjPNS8_10value_typeE: ; @_ZN7rocprim17ROCPRIM_304000_NS6detail31init_lookback_scan_state_kernelINS1_19lookback_scan_stateIN3c107complexIdEELb1ELb0EEEEEvT_jjPNS8_10value_typeE
; %bb.0:
	s_load_dword s3, s[0:1], 0x34
	s_load_dwordx2 s[12:13], s[0:1], 0x20
	s_load_dwordx4 s[4:7], s[0:1], 0x10
	s_waitcnt lgkmcnt(0)
	s_and_b32 s3, s3, 0xffff
	s_mul_i32 s2, s2, s3
	s_cmp_eq_u64 s[12:13], 0
	v_add_u32_e32 v0, s2, v0
	s_cbranch_scc1 .LBB79_9
; %bb.1:
	s_cmp_lt_u32 s7, s6
	s_cselect_b32 s2, s7, 0
	s_mov_b32 s15, 0
	v_cmp_eq_u32_e32 vcc, s2, v0
	s_and_saveexec_b64 s[2:3], vcc
	s_cbranch_execz .LBB79_8
; %bb.2:
	s_add_i32 s14, s7, 64
	v_mov_b32_e32 v1, s14
	global_load_ubyte v2, v1, s[4:5] sc1
	s_load_dwordx4 s[8:11], s[0:1], 0x0
	v_mov_b32_e32 v1, 0
	s_add_u32 s0, s4, s14
	s_addc_u32 s1, s5, 0
	s_waitcnt vmcnt(0)
	v_cmp_ne_u32_sdwa s[16:17], v2, v1 src0_sel:WORD_0 src1_sel:DWORD
	s_and_b64 vcc, exec, s[16:17]
	v_readfirstlane_b32 s16, v2
	s_cbranch_vccnz .LBB79_7
; %bb.3:
	s_mov_b32 s7, 1
.LBB79_4:                               ; =>This Loop Header: Depth=1
                                        ;     Child Loop BB79_5 Depth 2
	s_mov_b32 s16, s7
.LBB79_5:                               ;   Parent Loop BB79_4 Depth=1
                                        ; =>  This Inner Loop Header: Depth=2
	s_add_i32 s16, s16, -1
	s_cmp_eq_u32 s16, 0
	s_sleep 1
	s_cbranch_scc0 .LBB79_5
; %bb.6:                                ;   in Loop: Header=BB79_4 Depth=1
	global_load_ubyte v2, v1, s[0:1] sc1
	s_cmp_lt_u32 s7, 32
	s_cselect_b64 s[16:17], -1, 0
	s_cmp_lg_u64 s[16:17], 0
	s_addc_u32 s7, s7, 0
	s_waitcnt vmcnt(0)
	v_cmp_ne_u32_sdwa s[16:17], v2, v1 src0_sel:WORD_0 src1_sel:DWORD
	s_and_b64 vcc, exec, s[16:17]
	v_readfirstlane_b32 s16, v2
	s_cbranch_vccz .LBB79_4
.LBB79_7:
	s_and_b32 s0, 0xffff, s16
	s_cmp_eq_u32 s0, 1
	s_waitcnt lgkmcnt(0)
	s_cselect_b32 s7, s9, s11
	s_cselect_b32 s8, s8, s10
	s_lshl_b64 s[0:1], s[14:15], 4
	s_add_u32 s0, s8, s0
	s_addc_u32 s1, s7, s1
	v_mov_b32_e32 v1, 0
	s_waitcnt vmcnt(0)
	global_load_dword v2, v1, s[0:1] sc1
	global_load_dword v3, v1, s[0:1] offset:4 sc1
	global_load_dword v4, v1, s[0:1] offset:8 sc1
	;; [unrolled: 1-line block ×3, first 2 shown]
	s_waitcnt vmcnt(0)
	global_store_dwordx4 v1, v[2:5], s[12:13]
.LBB79_8:
	s_or_b64 exec, exec, s[2:3]
.LBB79_9:
	v_cmp_gt_u32_e32 vcc, s6, v0
	s_and_saveexec_b64 s[0:1], vcc
	s_cbranch_execnz .LBB79_12
; %bb.10:
	s_or_b64 exec, exec, s[0:1]
	v_cmp_gt_u32_e32 vcc, 64, v0
	s_and_saveexec_b64 s[0:1], vcc
	s_cbranch_execnz .LBB79_13
.LBB79_11:
	s_endpgm
.LBB79_12:
	v_add_u32_e32 v1, 64, v0
	v_mov_b32_e32 v2, 0
	global_store_byte v1, v2, s[4:5]
	s_or_b64 exec, exec, s[0:1]
	v_cmp_gt_u32_e32 vcc, 64, v0
	s_and_saveexec_b64 s[0:1], vcc
	s_cbranch_execz .LBB79_11
.LBB79_13:
	v_mov_b32_e32 v1, 0xff
	global_store_byte v0, v1, s[4:5]
	s_endpgm
	.section	.rodata,"a",@progbits
	.p2align	6, 0x0
	.amdhsa_kernel _ZN7rocprim17ROCPRIM_304000_NS6detail31init_lookback_scan_state_kernelINS1_19lookback_scan_stateIN3c107complexIdEELb1ELb0EEEEEvT_jjPNS8_10value_typeE
		.amdhsa_group_segment_fixed_size 0
		.amdhsa_private_segment_fixed_size 0
		.amdhsa_kernarg_size 296
		.amdhsa_user_sgpr_count 2
		.amdhsa_user_sgpr_dispatch_ptr 0
		.amdhsa_user_sgpr_queue_ptr 0
		.amdhsa_user_sgpr_kernarg_segment_ptr 1
		.amdhsa_user_sgpr_dispatch_id 0
		.amdhsa_user_sgpr_kernarg_preload_length 0
		.amdhsa_user_sgpr_kernarg_preload_offset 0
		.amdhsa_user_sgpr_private_segment_size 0
		.amdhsa_uses_dynamic_stack 0
		.amdhsa_enable_private_segment 0
		.amdhsa_system_sgpr_workgroup_id_x 1
		.amdhsa_system_sgpr_workgroup_id_y 0
		.amdhsa_system_sgpr_workgroup_id_z 0
		.amdhsa_system_sgpr_workgroup_info 0
		.amdhsa_system_vgpr_workitem_id 0
		.amdhsa_next_free_vgpr 6
		.amdhsa_next_free_sgpr 18
		.amdhsa_accum_offset 8
		.amdhsa_reserve_vcc 1
		.amdhsa_float_round_mode_32 0
		.amdhsa_float_round_mode_16_64 0
		.amdhsa_float_denorm_mode_32 3
		.amdhsa_float_denorm_mode_16_64 3
		.amdhsa_dx10_clamp 1
		.amdhsa_ieee_mode 1
		.amdhsa_fp16_overflow 0
		.amdhsa_tg_split 0
		.amdhsa_exception_fp_ieee_invalid_op 0
		.amdhsa_exception_fp_denorm_src 0
		.amdhsa_exception_fp_ieee_div_zero 0
		.amdhsa_exception_fp_ieee_overflow 0
		.amdhsa_exception_fp_ieee_underflow 0
		.amdhsa_exception_fp_ieee_inexact 0
		.amdhsa_exception_int_div_zero 0
	.end_amdhsa_kernel
	.section	.text._ZN7rocprim17ROCPRIM_304000_NS6detail31init_lookback_scan_state_kernelINS1_19lookback_scan_stateIN3c107complexIdEELb1ELb0EEEEEvT_jjPNS8_10value_typeE,"axG",@progbits,_ZN7rocprim17ROCPRIM_304000_NS6detail31init_lookback_scan_state_kernelINS1_19lookback_scan_stateIN3c107complexIdEELb1ELb0EEEEEvT_jjPNS8_10value_typeE,comdat
.Lfunc_end79:
	.size	_ZN7rocprim17ROCPRIM_304000_NS6detail31init_lookback_scan_state_kernelINS1_19lookback_scan_stateIN3c107complexIdEELb1ELb0EEEEEvT_jjPNS8_10value_typeE, .Lfunc_end79-_ZN7rocprim17ROCPRIM_304000_NS6detail31init_lookback_scan_state_kernelINS1_19lookback_scan_stateIN3c107complexIdEELb1ELb0EEEEEvT_jjPNS8_10value_typeE
                                        ; -- End function
	.set _ZN7rocprim17ROCPRIM_304000_NS6detail31init_lookback_scan_state_kernelINS1_19lookback_scan_stateIN3c107complexIdEELb1ELb0EEEEEvT_jjPNS8_10value_typeE.num_vgpr, 6
	.set _ZN7rocprim17ROCPRIM_304000_NS6detail31init_lookback_scan_state_kernelINS1_19lookback_scan_stateIN3c107complexIdEELb1ELb0EEEEEvT_jjPNS8_10value_typeE.num_agpr, 0
	.set _ZN7rocprim17ROCPRIM_304000_NS6detail31init_lookback_scan_state_kernelINS1_19lookback_scan_stateIN3c107complexIdEELb1ELb0EEEEEvT_jjPNS8_10value_typeE.numbered_sgpr, 18
	.set _ZN7rocprim17ROCPRIM_304000_NS6detail31init_lookback_scan_state_kernelINS1_19lookback_scan_stateIN3c107complexIdEELb1ELb0EEEEEvT_jjPNS8_10value_typeE.num_named_barrier, 0
	.set _ZN7rocprim17ROCPRIM_304000_NS6detail31init_lookback_scan_state_kernelINS1_19lookback_scan_stateIN3c107complexIdEELb1ELb0EEEEEvT_jjPNS8_10value_typeE.private_seg_size, 0
	.set _ZN7rocprim17ROCPRIM_304000_NS6detail31init_lookback_scan_state_kernelINS1_19lookback_scan_stateIN3c107complexIdEELb1ELb0EEEEEvT_jjPNS8_10value_typeE.uses_vcc, 1
	.set _ZN7rocprim17ROCPRIM_304000_NS6detail31init_lookback_scan_state_kernelINS1_19lookback_scan_stateIN3c107complexIdEELb1ELb0EEEEEvT_jjPNS8_10value_typeE.uses_flat_scratch, 0
	.set _ZN7rocprim17ROCPRIM_304000_NS6detail31init_lookback_scan_state_kernelINS1_19lookback_scan_stateIN3c107complexIdEELb1ELb0EEEEEvT_jjPNS8_10value_typeE.has_dyn_sized_stack, 0
	.set _ZN7rocprim17ROCPRIM_304000_NS6detail31init_lookback_scan_state_kernelINS1_19lookback_scan_stateIN3c107complexIdEELb1ELb0EEEEEvT_jjPNS8_10value_typeE.has_recursion, 0
	.set _ZN7rocprim17ROCPRIM_304000_NS6detail31init_lookback_scan_state_kernelINS1_19lookback_scan_stateIN3c107complexIdEELb1ELb0EEEEEvT_jjPNS8_10value_typeE.has_indirect_call, 0
	.section	.AMDGPU.csdata,"",@progbits
; Kernel info:
; codeLenInByte = 384
; TotalNumSgprs: 24
; NumVgprs: 6
; NumAgprs: 0
; TotalNumVgprs: 6
; ScratchSize: 0
; MemoryBound: 0
; FloatMode: 240
; IeeeMode: 1
; LDSByteSize: 0 bytes/workgroup (compile time only)
; SGPRBlocks: 2
; VGPRBlocks: 0
; NumSGPRsForWavesPerEU: 24
; NumVGPRsForWavesPerEU: 6
; AccumOffset: 8
; Occupancy: 8
; WaveLimiterHint : 0
; COMPUTE_PGM_RSRC2:SCRATCH_EN: 0
; COMPUTE_PGM_RSRC2:USER_SGPR: 2
; COMPUTE_PGM_RSRC2:TRAP_HANDLER: 0
; COMPUTE_PGM_RSRC2:TGID_X_EN: 1
; COMPUTE_PGM_RSRC2:TGID_Y_EN: 0
; COMPUTE_PGM_RSRC2:TGID_Z_EN: 0
; COMPUTE_PGM_RSRC2:TIDIG_COMP_CNT: 0
; COMPUTE_PGM_RSRC3_GFX90A:ACCUM_OFFSET: 1
; COMPUTE_PGM_RSRC3_GFX90A:TG_SPLIT: 0
	.section	.text._ZN7rocprim17ROCPRIM_304000_NS6detail31init_lookback_scan_state_kernelINS1_19lookback_scan_stateIN3c107complexIdEELb0ELb0EEEEEvT_jjPNS8_10value_typeE,"axG",@progbits,_ZN7rocprim17ROCPRIM_304000_NS6detail31init_lookback_scan_state_kernelINS1_19lookback_scan_stateIN3c107complexIdEELb0ELb0EEEEEvT_jjPNS8_10value_typeE,comdat
	.protected	_ZN7rocprim17ROCPRIM_304000_NS6detail31init_lookback_scan_state_kernelINS1_19lookback_scan_stateIN3c107complexIdEELb0ELb0EEEEEvT_jjPNS8_10value_typeE ; -- Begin function _ZN7rocprim17ROCPRIM_304000_NS6detail31init_lookback_scan_state_kernelINS1_19lookback_scan_stateIN3c107complexIdEELb0ELb0EEEEEvT_jjPNS8_10value_typeE
	.globl	_ZN7rocprim17ROCPRIM_304000_NS6detail31init_lookback_scan_state_kernelINS1_19lookback_scan_stateIN3c107complexIdEELb0ELb0EEEEEvT_jjPNS8_10value_typeE
	.p2align	8
	.type	_ZN7rocprim17ROCPRIM_304000_NS6detail31init_lookback_scan_state_kernelINS1_19lookback_scan_stateIN3c107complexIdEELb0ELb0EEEEEvT_jjPNS8_10value_typeE,@function
_ZN7rocprim17ROCPRIM_304000_NS6detail31init_lookback_scan_state_kernelINS1_19lookback_scan_stateIN3c107complexIdEELb0ELb0EEEEEvT_jjPNS8_10value_typeE: ; @_ZN7rocprim17ROCPRIM_304000_NS6detail31init_lookback_scan_state_kernelINS1_19lookback_scan_stateIN3c107complexIdEELb0ELb0EEEEEvT_jjPNS8_10value_typeE
; %bb.0:
	s_load_dword s3, s[0:1], 0x34
	s_load_dwordx2 s[12:13], s[0:1], 0x20
	s_load_dwordx4 s[4:7], s[0:1], 0x10
	s_waitcnt lgkmcnt(0)
	s_and_b32 s3, s3, 0xffff
	s_mul_i32 s2, s2, s3
	s_cmp_eq_u64 s[12:13], 0
	v_add_u32_e32 v0, s2, v0
	s_cbranch_scc1 .LBB80_6
; %bb.1:
	s_cmp_lt_u32 s7, s6
	s_cselect_b32 s2, s7, 0
	s_mov_b32 s15, 0
	v_cmp_eq_u32_e32 vcc, s2, v0
	s_and_saveexec_b64 s[2:3], vcc
	s_cbranch_execz .LBB80_5
; %bb.2:
	s_add_i32 s14, s7, 64
	v_mov_b32_e32 v1, s14
	global_load_ubyte v2, v1, s[4:5] sc1
	s_load_dwordx4 s[8:11], s[0:1], 0x0
	v_mov_b32_e32 v1, 0
	s_add_u32 s0, s4, s14
	s_addc_u32 s1, s5, 0
	s_waitcnt vmcnt(0)
	v_cmp_ne_u32_sdwa s[16:17], v2, v1 src0_sel:WORD_0 src1_sel:DWORD
	s_and_b64 vcc, exec, s[16:17]
	v_readfirstlane_b32 s7, v2
	s_cbranch_vccnz .LBB80_4
.LBB80_3:                               ; =>This Inner Loop Header: Depth=1
	global_load_ubyte v2, v1, s[0:1] sc1
	s_waitcnt vmcnt(0)
	v_cmp_eq_u32_sdwa s[16:17], v2, v1 src0_sel:WORD_0 src1_sel:DWORD
	s_and_b64 vcc, exec, s[16:17]
	v_readfirstlane_b32 s7, v2
	s_cbranch_vccnz .LBB80_3
.LBB80_4:
	s_and_b32 s0, 0xffff, s7
	s_cmp_eq_u32 s0, 1
	s_waitcnt lgkmcnt(0)
	s_cselect_b32 s7, s9, s11
	s_cselect_b32 s8, s8, s10
	s_lshl_b64 s[0:1], s[14:15], 4
	s_add_u32 s0, s8, s0
	s_addc_u32 s1, s7, s1
	v_mov_b32_e32 v1, 0
	s_waitcnt vmcnt(0)
	global_load_dword v2, v1, s[0:1] sc1
	global_load_dword v3, v1, s[0:1] offset:4 sc1
	global_load_dword v4, v1, s[0:1] offset:8 sc1
	;; [unrolled: 1-line block ×3, first 2 shown]
	s_waitcnt vmcnt(0)
	global_store_dwordx4 v1, v[2:5], s[12:13]
.LBB80_5:
	s_or_b64 exec, exec, s[2:3]
.LBB80_6:
	v_cmp_gt_u32_e32 vcc, s6, v0
	s_and_saveexec_b64 s[0:1], vcc
	s_cbranch_execnz .LBB80_9
; %bb.7:
	s_or_b64 exec, exec, s[0:1]
	v_cmp_gt_u32_e32 vcc, 64, v0
	s_and_saveexec_b64 s[0:1], vcc
	s_cbranch_execnz .LBB80_10
.LBB80_8:
	s_endpgm
.LBB80_9:
	v_add_u32_e32 v1, 64, v0
	v_mov_b32_e32 v2, 0
	global_store_byte v1, v2, s[4:5]
	s_or_b64 exec, exec, s[0:1]
	v_cmp_gt_u32_e32 vcc, 64, v0
	s_and_saveexec_b64 s[0:1], vcc
	s_cbranch_execz .LBB80_8
.LBB80_10:
	v_mov_b32_e32 v1, 0xff
	global_store_byte v0, v1, s[4:5]
	s_endpgm
	.section	.rodata,"a",@progbits
	.p2align	6, 0x0
	.amdhsa_kernel _ZN7rocprim17ROCPRIM_304000_NS6detail31init_lookback_scan_state_kernelINS1_19lookback_scan_stateIN3c107complexIdEELb0ELb0EEEEEvT_jjPNS8_10value_typeE
		.amdhsa_group_segment_fixed_size 0
		.amdhsa_private_segment_fixed_size 0
		.amdhsa_kernarg_size 296
		.amdhsa_user_sgpr_count 2
		.amdhsa_user_sgpr_dispatch_ptr 0
		.amdhsa_user_sgpr_queue_ptr 0
		.amdhsa_user_sgpr_kernarg_segment_ptr 1
		.amdhsa_user_sgpr_dispatch_id 0
		.amdhsa_user_sgpr_kernarg_preload_length 0
		.amdhsa_user_sgpr_kernarg_preload_offset 0
		.amdhsa_user_sgpr_private_segment_size 0
		.amdhsa_uses_dynamic_stack 0
		.amdhsa_enable_private_segment 0
		.amdhsa_system_sgpr_workgroup_id_x 1
		.amdhsa_system_sgpr_workgroup_id_y 0
		.amdhsa_system_sgpr_workgroup_id_z 0
		.amdhsa_system_sgpr_workgroup_info 0
		.amdhsa_system_vgpr_workitem_id 0
		.amdhsa_next_free_vgpr 6
		.amdhsa_next_free_sgpr 18
		.amdhsa_accum_offset 8
		.amdhsa_reserve_vcc 1
		.amdhsa_float_round_mode_32 0
		.amdhsa_float_round_mode_16_64 0
		.amdhsa_float_denorm_mode_32 3
		.amdhsa_float_denorm_mode_16_64 3
		.amdhsa_dx10_clamp 1
		.amdhsa_ieee_mode 1
		.amdhsa_fp16_overflow 0
		.amdhsa_tg_split 0
		.amdhsa_exception_fp_ieee_invalid_op 0
		.amdhsa_exception_fp_denorm_src 0
		.amdhsa_exception_fp_ieee_div_zero 0
		.amdhsa_exception_fp_ieee_overflow 0
		.amdhsa_exception_fp_ieee_underflow 0
		.amdhsa_exception_fp_ieee_inexact 0
		.amdhsa_exception_int_div_zero 0
	.end_amdhsa_kernel
	.section	.text._ZN7rocprim17ROCPRIM_304000_NS6detail31init_lookback_scan_state_kernelINS1_19lookback_scan_stateIN3c107complexIdEELb0ELb0EEEEEvT_jjPNS8_10value_typeE,"axG",@progbits,_ZN7rocprim17ROCPRIM_304000_NS6detail31init_lookback_scan_state_kernelINS1_19lookback_scan_stateIN3c107complexIdEELb0ELb0EEEEEvT_jjPNS8_10value_typeE,comdat
.Lfunc_end80:
	.size	_ZN7rocprim17ROCPRIM_304000_NS6detail31init_lookback_scan_state_kernelINS1_19lookback_scan_stateIN3c107complexIdEELb0ELb0EEEEEvT_jjPNS8_10value_typeE, .Lfunc_end80-_ZN7rocprim17ROCPRIM_304000_NS6detail31init_lookback_scan_state_kernelINS1_19lookback_scan_stateIN3c107complexIdEELb0ELb0EEEEEvT_jjPNS8_10value_typeE
                                        ; -- End function
	.set _ZN7rocprim17ROCPRIM_304000_NS6detail31init_lookback_scan_state_kernelINS1_19lookback_scan_stateIN3c107complexIdEELb0ELb0EEEEEvT_jjPNS8_10value_typeE.num_vgpr, 6
	.set _ZN7rocprim17ROCPRIM_304000_NS6detail31init_lookback_scan_state_kernelINS1_19lookback_scan_stateIN3c107complexIdEELb0ELb0EEEEEvT_jjPNS8_10value_typeE.num_agpr, 0
	.set _ZN7rocprim17ROCPRIM_304000_NS6detail31init_lookback_scan_state_kernelINS1_19lookback_scan_stateIN3c107complexIdEELb0ELb0EEEEEvT_jjPNS8_10value_typeE.numbered_sgpr, 18
	.set _ZN7rocprim17ROCPRIM_304000_NS6detail31init_lookback_scan_state_kernelINS1_19lookback_scan_stateIN3c107complexIdEELb0ELb0EEEEEvT_jjPNS8_10value_typeE.num_named_barrier, 0
	.set _ZN7rocprim17ROCPRIM_304000_NS6detail31init_lookback_scan_state_kernelINS1_19lookback_scan_stateIN3c107complexIdEELb0ELb0EEEEEvT_jjPNS8_10value_typeE.private_seg_size, 0
	.set _ZN7rocprim17ROCPRIM_304000_NS6detail31init_lookback_scan_state_kernelINS1_19lookback_scan_stateIN3c107complexIdEELb0ELb0EEEEEvT_jjPNS8_10value_typeE.uses_vcc, 1
	.set _ZN7rocprim17ROCPRIM_304000_NS6detail31init_lookback_scan_state_kernelINS1_19lookback_scan_stateIN3c107complexIdEELb0ELb0EEEEEvT_jjPNS8_10value_typeE.uses_flat_scratch, 0
	.set _ZN7rocprim17ROCPRIM_304000_NS6detail31init_lookback_scan_state_kernelINS1_19lookback_scan_stateIN3c107complexIdEELb0ELb0EEEEEvT_jjPNS8_10value_typeE.has_dyn_sized_stack, 0
	.set _ZN7rocprim17ROCPRIM_304000_NS6detail31init_lookback_scan_state_kernelINS1_19lookback_scan_stateIN3c107complexIdEELb0ELb0EEEEEvT_jjPNS8_10value_typeE.has_recursion, 0
	.set _ZN7rocprim17ROCPRIM_304000_NS6detail31init_lookback_scan_state_kernelINS1_19lookback_scan_stateIN3c107complexIdEELb0ELb0EEEEEvT_jjPNS8_10value_typeE.has_indirect_call, 0
	.section	.AMDGPU.csdata,"",@progbits
; Kernel info:
; codeLenInByte = 344
; TotalNumSgprs: 24
; NumVgprs: 6
; NumAgprs: 0
; TotalNumVgprs: 6
; ScratchSize: 0
; MemoryBound: 0
; FloatMode: 240
; IeeeMode: 1
; LDSByteSize: 0 bytes/workgroup (compile time only)
; SGPRBlocks: 2
; VGPRBlocks: 0
; NumSGPRsForWavesPerEU: 24
; NumVGPRsForWavesPerEU: 6
; AccumOffset: 8
; Occupancy: 8
; WaveLimiterHint : 0
; COMPUTE_PGM_RSRC2:SCRATCH_EN: 0
; COMPUTE_PGM_RSRC2:USER_SGPR: 2
; COMPUTE_PGM_RSRC2:TRAP_HANDLER: 0
; COMPUTE_PGM_RSRC2:TGID_X_EN: 1
; COMPUTE_PGM_RSRC2:TGID_Y_EN: 0
; COMPUTE_PGM_RSRC2:TGID_Z_EN: 0
; COMPUTE_PGM_RSRC2:TIDIG_COMP_CNT: 0
; COMPUTE_PGM_RSRC3_GFX90A:ACCUM_OFFSET: 1
; COMPUTE_PGM_RSRC3_GFX90A:TG_SPLIT: 0
	.section	.text._ZN7rocprim17ROCPRIM_304000_NS6detail20lookback_scan_kernelILNS1_25lookback_scan_determinismE0ELb0ENS1_19wrapped_scan_configINS0_14default_configEN3c107complexIdEEEEPKS8_PS8_St4plusIS8_ES8_S8_NS1_19lookback_scan_stateIS8_Lb1ELb0EEEEEvT2_T3_mT5_T4_T7_jPT6_SN_bb,"axG",@progbits,_ZN7rocprim17ROCPRIM_304000_NS6detail20lookback_scan_kernelILNS1_25lookback_scan_determinismE0ELb0ENS1_19wrapped_scan_configINS0_14default_configEN3c107complexIdEEEEPKS8_PS8_St4plusIS8_ES8_S8_NS1_19lookback_scan_stateIS8_Lb1ELb0EEEEEvT2_T3_mT5_T4_T7_jPT6_SN_bb,comdat
	.protected	_ZN7rocprim17ROCPRIM_304000_NS6detail20lookback_scan_kernelILNS1_25lookback_scan_determinismE0ELb0ENS1_19wrapped_scan_configINS0_14default_configEN3c107complexIdEEEEPKS8_PS8_St4plusIS8_ES8_S8_NS1_19lookback_scan_stateIS8_Lb1ELb0EEEEEvT2_T3_mT5_T4_T7_jPT6_SN_bb ; -- Begin function _ZN7rocprim17ROCPRIM_304000_NS6detail20lookback_scan_kernelILNS1_25lookback_scan_determinismE0ELb0ENS1_19wrapped_scan_configINS0_14default_configEN3c107complexIdEEEEPKS8_PS8_St4plusIS8_ES8_S8_NS1_19lookback_scan_stateIS8_Lb1ELb0EEEEEvT2_T3_mT5_T4_T7_jPT6_SN_bb
	.globl	_ZN7rocprim17ROCPRIM_304000_NS6detail20lookback_scan_kernelILNS1_25lookback_scan_determinismE0ELb0ENS1_19wrapped_scan_configINS0_14default_configEN3c107complexIdEEEEPKS8_PS8_St4plusIS8_ES8_S8_NS1_19lookback_scan_stateIS8_Lb1ELb0EEEEEvT2_T3_mT5_T4_T7_jPT6_SN_bb
	.p2align	8
	.type	_ZN7rocprim17ROCPRIM_304000_NS6detail20lookback_scan_kernelILNS1_25lookback_scan_determinismE0ELb0ENS1_19wrapped_scan_configINS0_14default_configEN3c107complexIdEEEEPKS8_PS8_St4plusIS8_ES8_S8_NS1_19lookback_scan_stateIS8_Lb1ELb0EEEEEvT2_T3_mT5_T4_T7_jPT6_SN_bb,@function
_ZN7rocprim17ROCPRIM_304000_NS6detail20lookback_scan_kernelILNS1_25lookback_scan_determinismE0ELb0ENS1_19wrapped_scan_configINS0_14default_configEN3c107complexIdEEEEPKS8_PS8_St4plusIS8_ES8_S8_NS1_19lookback_scan_stateIS8_Lb1ELb0EEEEEvT2_T3_mT5_T4_T7_jPT6_SN_bb: ; @_ZN7rocprim17ROCPRIM_304000_NS6detail20lookback_scan_kernelILNS1_25lookback_scan_determinismE0ELb0ENS1_19wrapped_scan_configINS0_14default_configEN3c107complexIdEEEEPKS8_PS8_St4plusIS8_ES8_S8_NS1_19lookback_scan_stateIS8_Lb1ELb0EEEEEvT2_T3_mT5_T4_T7_jPT6_SN_bb
; %bb.0:
	s_endpgm
	.section	.rodata,"a",@progbits
	.p2align	6, 0x0
	.amdhsa_kernel _ZN7rocprim17ROCPRIM_304000_NS6detail20lookback_scan_kernelILNS1_25lookback_scan_determinismE0ELb0ENS1_19wrapped_scan_configINS0_14default_configEN3c107complexIdEEEEPKS8_PS8_St4plusIS8_ES8_S8_NS1_19lookback_scan_stateIS8_Lb1ELb0EEEEEvT2_T3_mT5_T4_T7_jPT6_SN_bb
		.amdhsa_group_segment_fixed_size 0
		.amdhsa_private_segment_fixed_size 0
		.amdhsa_kernarg_size 108
		.amdhsa_user_sgpr_count 2
		.amdhsa_user_sgpr_dispatch_ptr 0
		.amdhsa_user_sgpr_queue_ptr 0
		.amdhsa_user_sgpr_kernarg_segment_ptr 1
		.amdhsa_user_sgpr_dispatch_id 0
		.amdhsa_user_sgpr_kernarg_preload_length 0
		.amdhsa_user_sgpr_kernarg_preload_offset 0
		.amdhsa_user_sgpr_private_segment_size 0
		.amdhsa_uses_dynamic_stack 0
		.amdhsa_enable_private_segment 0
		.amdhsa_system_sgpr_workgroup_id_x 1
		.amdhsa_system_sgpr_workgroup_id_y 0
		.amdhsa_system_sgpr_workgroup_id_z 0
		.amdhsa_system_sgpr_workgroup_info 0
		.amdhsa_system_vgpr_workitem_id 0
		.amdhsa_next_free_vgpr 1
		.amdhsa_next_free_sgpr 0
		.amdhsa_accum_offset 4
		.amdhsa_reserve_vcc 0
		.amdhsa_float_round_mode_32 0
		.amdhsa_float_round_mode_16_64 0
		.amdhsa_float_denorm_mode_32 3
		.amdhsa_float_denorm_mode_16_64 3
		.amdhsa_dx10_clamp 1
		.amdhsa_ieee_mode 1
		.amdhsa_fp16_overflow 0
		.amdhsa_tg_split 0
		.amdhsa_exception_fp_ieee_invalid_op 0
		.amdhsa_exception_fp_denorm_src 0
		.amdhsa_exception_fp_ieee_div_zero 0
		.amdhsa_exception_fp_ieee_overflow 0
		.amdhsa_exception_fp_ieee_underflow 0
		.amdhsa_exception_fp_ieee_inexact 0
		.amdhsa_exception_int_div_zero 0
	.end_amdhsa_kernel
	.section	.text._ZN7rocprim17ROCPRIM_304000_NS6detail20lookback_scan_kernelILNS1_25lookback_scan_determinismE0ELb0ENS1_19wrapped_scan_configINS0_14default_configEN3c107complexIdEEEEPKS8_PS8_St4plusIS8_ES8_S8_NS1_19lookback_scan_stateIS8_Lb1ELb0EEEEEvT2_T3_mT5_T4_T7_jPT6_SN_bb,"axG",@progbits,_ZN7rocprim17ROCPRIM_304000_NS6detail20lookback_scan_kernelILNS1_25lookback_scan_determinismE0ELb0ENS1_19wrapped_scan_configINS0_14default_configEN3c107complexIdEEEEPKS8_PS8_St4plusIS8_ES8_S8_NS1_19lookback_scan_stateIS8_Lb1ELb0EEEEEvT2_T3_mT5_T4_T7_jPT6_SN_bb,comdat
.Lfunc_end81:
	.size	_ZN7rocprim17ROCPRIM_304000_NS6detail20lookback_scan_kernelILNS1_25lookback_scan_determinismE0ELb0ENS1_19wrapped_scan_configINS0_14default_configEN3c107complexIdEEEEPKS8_PS8_St4plusIS8_ES8_S8_NS1_19lookback_scan_stateIS8_Lb1ELb0EEEEEvT2_T3_mT5_T4_T7_jPT6_SN_bb, .Lfunc_end81-_ZN7rocprim17ROCPRIM_304000_NS6detail20lookback_scan_kernelILNS1_25lookback_scan_determinismE0ELb0ENS1_19wrapped_scan_configINS0_14default_configEN3c107complexIdEEEEPKS8_PS8_St4plusIS8_ES8_S8_NS1_19lookback_scan_stateIS8_Lb1ELb0EEEEEvT2_T3_mT5_T4_T7_jPT6_SN_bb
                                        ; -- End function
	.set _ZN7rocprim17ROCPRIM_304000_NS6detail20lookback_scan_kernelILNS1_25lookback_scan_determinismE0ELb0ENS1_19wrapped_scan_configINS0_14default_configEN3c107complexIdEEEEPKS8_PS8_St4plusIS8_ES8_S8_NS1_19lookback_scan_stateIS8_Lb1ELb0EEEEEvT2_T3_mT5_T4_T7_jPT6_SN_bb.num_vgpr, 0
	.set _ZN7rocprim17ROCPRIM_304000_NS6detail20lookback_scan_kernelILNS1_25lookback_scan_determinismE0ELb0ENS1_19wrapped_scan_configINS0_14default_configEN3c107complexIdEEEEPKS8_PS8_St4plusIS8_ES8_S8_NS1_19lookback_scan_stateIS8_Lb1ELb0EEEEEvT2_T3_mT5_T4_T7_jPT6_SN_bb.num_agpr, 0
	.set _ZN7rocprim17ROCPRIM_304000_NS6detail20lookback_scan_kernelILNS1_25lookback_scan_determinismE0ELb0ENS1_19wrapped_scan_configINS0_14default_configEN3c107complexIdEEEEPKS8_PS8_St4plusIS8_ES8_S8_NS1_19lookback_scan_stateIS8_Lb1ELb0EEEEEvT2_T3_mT5_T4_T7_jPT6_SN_bb.numbered_sgpr, 0
	.set _ZN7rocprim17ROCPRIM_304000_NS6detail20lookback_scan_kernelILNS1_25lookback_scan_determinismE0ELb0ENS1_19wrapped_scan_configINS0_14default_configEN3c107complexIdEEEEPKS8_PS8_St4plusIS8_ES8_S8_NS1_19lookback_scan_stateIS8_Lb1ELb0EEEEEvT2_T3_mT5_T4_T7_jPT6_SN_bb.num_named_barrier, 0
	.set _ZN7rocprim17ROCPRIM_304000_NS6detail20lookback_scan_kernelILNS1_25lookback_scan_determinismE0ELb0ENS1_19wrapped_scan_configINS0_14default_configEN3c107complexIdEEEEPKS8_PS8_St4plusIS8_ES8_S8_NS1_19lookback_scan_stateIS8_Lb1ELb0EEEEEvT2_T3_mT5_T4_T7_jPT6_SN_bb.private_seg_size, 0
	.set _ZN7rocprim17ROCPRIM_304000_NS6detail20lookback_scan_kernelILNS1_25lookback_scan_determinismE0ELb0ENS1_19wrapped_scan_configINS0_14default_configEN3c107complexIdEEEEPKS8_PS8_St4plusIS8_ES8_S8_NS1_19lookback_scan_stateIS8_Lb1ELb0EEEEEvT2_T3_mT5_T4_T7_jPT6_SN_bb.uses_vcc, 0
	.set _ZN7rocprim17ROCPRIM_304000_NS6detail20lookback_scan_kernelILNS1_25lookback_scan_determinismE0ELb0ENS1_19wrapped_scan_configINS0_14default_configEN3c107complexIdEEEEPKS8_PS8_St4plusIS8_ES8_S8_NS1_19lookback_scan_stateIS8_Lb1ELb0EEEEEvT2_T3_mT5_T4_T7_jPT6_SN_bb.uses_flat_scratch, 0
	.set _ZN7rocprim17ROCPRIM_304000_NS6detail20lookback_scan_kernelILNS1_25lookback_scan_determinismE0ELb0ENS1_19wrapped_scan_configINS0_14default_configEN3c107complexIdEEEEPKS8_PS8_St4plusIS8_ES8_S8_NS1_19lookback_scan_stateIS8_Lb1ELb0EEEEEvT2_T3_mT5_T4_T7_jPT6_SN_bb.has_dyn_sized_stack, 0
	.set _ZN7rocprim17ROCPRIM_304000_NS6detail20lookback_scan_kernelILNS1_25lookback_scan_determinismE0ELb0ENS1_19wrapped_scan_configINS0_14default_configEN3c107complexIdEEEEPKS8_PS8_St4plusIS8_ES8_S8_NS1_19lookback_scan_stateIS8_Lb1ELb0EEEEEvT2_T3_mT5_T4_T7_jPT6_SN_bb.has_recursion, 0
	.set _ZN7rocprim17ROCPRIM_304000_NS6detail20lookback_scan_kernelILNS1_25lookback_scan_determinismE0ELb0ENS1_19wrapped_scan_configINS0_14default_configEN3c107complexIdEEEEPKS8_PS8_St4plusIS8_ES8_S8_NS1_19lookback_scan_stateIS8_Lb1ELb0EEEEEvT2_T3_mT5_T4_T7_jPT6_SN_bb.has_indirect_call, 0
	.section	.AMDGPU.csdata,"",@progbits
; Kernel info:
; codeLenInByte = 4
; TotalNumSgprs: 6
; NumVgprs: 0
; NumAgprs: 0
; TotalNumVgprs: 0
; ScratchSize: 0
; MemoryBound: 0
; FloatMode: 240
; IeeeMode: 1
; LDSByteSize: 0 bytes/workgroup (compile time only)
; SGPRBlocks: 0
; VGPRBlocks: 0
; NumSGPRsForWavesPerEU: 6
; NumVGPRsForWavesPerEU: 1
; AccumOffset: 4
; Occupancy: 8
; WaveLimiterHint : 0
; COMPUTE_PGM_RSRC2:SCRATCH_EN: 0
; COMPUTE_PGM_RSRC2:USER_SGPR: 2
; COMPUTE_PGM_RSRC2:TRAP_HANDLER: 0
; COMPUTE_PGM_RSRC2:TGID_X_EN: 1
; COMPUTE_PGM_RSRC2:TGID_Y_EN: 0
; COMPUTE_PGM_RSRC2:TGID_Z_EN: 0
; COMPUTE_PGM_RSRC2:TIDIG_COMP_CNT: 0
; COMPUTE_PGM_RSRC3_GFX90A:ACCUM_OFFSET: 0
; COMPUTE_PGM_RSRC3_GFX90A:TG_SPLIT: 0
	.section	.text._ZN7rocprim17ROCPRIM_304000_NS6detail20lookback_scan_kernelILNS1_25lookback_scan_determinismE0ELb0ENS1_19wrapped_scan_configINS0_14default_configEN3c107complexIdEEEEPKS8_PS8_St4plusIS8_ES8_S8_NS1_19lookback_scan_stateIS8_Lb0ELb0EEEEEvT2_T3_mT5_T4_T7_jPT6_SN_bb,"axG",@progbits,_ZN7rocprim17ROCPRIM_304000_NS6detail20lookback_scan_kernelILNS1_25lookback_scan_determinismE0ELb0ENS1_19wrapped_scan_configINS0_14default_configEN3c107complexIdEEEEPKS8_PS8_St4plusIS8_ES8_S8_NS1_19lookback_scan_stateIS8_Lb0ELb0EEEEEvT2_T3_mT5_T4_T7_jPT6_SN_bb,comdat
	.protected	_ZN7rocprim17ROCPRIM_304000_NS6detail20lookback_scan_kernelILNS1_25lookback_scan_determinismE0ELb0ENS1_19wrapped_scan_configINS0_14default_configEN3c107complexIdEEEEPKS8_PS8_St4plusIS8_ES8_S8_NS1_19lookback_scan_stateIS8_Lb0ELb0EEEEEvT2_T3_mT5_T4_T7_jPT6_SN_bb ; -- Begin function _ZN7rocprim17ROCPRIM_304000_NS6detail20lookback_scan_kernelILNS1_25lookback_scan_determinismE0ELb0ENS1_19wrapped_scan_configINS0_14default_configEN3c107complexIdEEEEPKS8_PS8_St4plusIS8_ES8_S8_NS1_19lookback_scan_stateIS8_Lb0ELb0EEEEEvT2_T3_mT5_T4_T7_jPT6_SN_bb
	.globl	_ZN7rocprim17ROCPRIM_304000_NS6detail20lookback_scan_kernelILNS1_25lookback_scan_determinismE0ELb0ENS1_19wrapped_scan_configINS0_14default_configEN3c107complexIdEEEEPKS8_PS8_St4plusIS8_ES8_S8_NS1_19lookback_scan_stateIS8_Lb0ELb0EEEEEvT2_T3_mT5_T4_T7_jPT6_SN_bb
	.p2align	8
	.type	_ZN7rocprim17ROCPRIM_304000_NS6detail20lookback_scan_kernelILNS1_25lookback_scan_determinismE0ELb0ENS1_19wrapped_scan_configINS0_14default_configEN3c107complexIdEEEEPKS8_PS8_St4plusIS8_ES8_S8_NS1_19lookback_scan_stateIS8_Lb0ELb0EEEEEvT2_T3_mT5_T4_T7_jPT6_SN_bb,@function
_ZN7rocprim17ROCPRIM_304000_NS6detail20lookback_scan_kernelILNS1_25lookback_scan_determinismE0ELb0ENS1_19wrapped_scan_configINS0_14default_configEN3c107complexIdEEEEPKS8_PS8_St4plusIS8_ES8_S8_NS1_19lookback_scan_stateIS8_Lb0ELb0EEEEEvT2_T3_mT5_T4_T7_jPT6_SN_bb: ; @_ZN7rocprim17ROCPRIM_304000_NS6detail20lookback_scan_kernelILNS1_25lookback_scan_determinismE0ELb0ENS1_19wrapped_scan_configINS0_14default_configEN3c107complexIdEEEEPKS8_PS8_St4plusIS8_ES8_S8_NS1_19lookback_scan_stateIS8_Lb0ELb0EEEEEvT2_T3_mT5_T4_T7_jPT6_SN_bb
; %bb.0:
	s_load_dword s3, s[0:1], 0x50
	s_load_dwordx4 s[8:11], s[0:1], 0x0
	s_load_dwordx2 s[4:5], s[0:1], 0x10
	s_load_dwordx4 s[12:15], s[0:1], 0x38
	s_load_dwordx2 s[24:25], s[0:1], 0x48
	s_waitcnt lgkmcnt(0)
	s_add_i32 s3, s3, -1
	s_mul_i32 s16, s3, 0x500
	s_sub_u32 s26, s4, s16
	s_subb_u32 s27, s5, 0
	s_mov_b32 s7, 0
	s_mul_i32 s6, s2, 0x500
	s_cmp_lg_u32 s2, s3
	s_cselect_b64 s[20:21], -1, 0
	s_lshl_b64 s[22:23], s[6:7], 4
	s_add_u32 s6, s8, s22
	s_addc_u32 s7, s9, s23
	s_mov_b64 s[4:5], -1
	s_and_b64 vcc, exec, s[20:21]
	v_lshlrev_b32_e32 v86, 4, v0
	s_cbranch_vccz .LBB82_2
; %bb.1:
	v_mov_b32_e32 v87, 0
	v_lshl_add_u64 v[34:35], s[6:7], 0, v[86:87]
	v_add_co_u32_e32 v18, vcc, 0x1000, v34
	global_load_dwordx4 v[2:5], v86, s[6:7]
	global_load_dwordx4 v[6:9], v86, s[6:7] offset:2048
	v_addc_co_u32_e32 v19, vcc, 0, v35, vcc
	v_add_co_u32_e32 v26, vcc, 0x2000, v34
	global_load_dwordx4 v[10:13], v[18:19], off
	global_load_dwordx4 v[14:17], v[18:19], off offset:2048
	v_addc_co_u32_e32 v27, vcc, 0, v35, vcc
	v_add_co_u32_e32 v36, vcc, 0x3000, v34
	global_load_dwordx4 v[18:21], v[26:27], off
	global_load_dwordx4 v[22:25], v[26:27], off offset:2048
	;; [unrolled: 4-line block ×3, first 2 shown]
	v_addc_co_u32_e32 v43, vcc, 0, v35, vcc
	global_load_dwordx4 v[34:37], v[42:43], off
	global_load_dwordx4 v[38:41], v[42:43], off offset:2048
	s_mov_b64 s[4:5], 0
	s_waitcnt vmcnt(9)
	ds_write_b128 v86, v[2:5]
	s_waitcnt vmcnt(8)
	ds_write_b128 v86, v[6:9] offset:2048
	s_waitcnt vmcnt(7)
	ds_write_b128 v86, v[10:13] offset:4096
	;; [unrolled: 2-line block ×9, first 2 shown]
	s_waitcnt lgkmcnt(0)
	s_barrier
.LBB82_2:
	s_andn2_b64 vcc, exec, s[4:5]
	v_cmp_gt_u32_e64 s[4:5], s26, v0
	s_cbranch_vccnz .LBB82_24
; %bb.3:
	s_load_dwordx4 s[16:19], s[6:7], 0x0
	v_mov_b32_e32 v87, 0
	v_lshl_add_u64 v[2:3], s[6:7], 0, v[86:87]
	s_waitcnt lgkmcnt(0)
	v_mov_b64_e32 v[6:7], s[18:19]
	v_mov_b64_e32 v[4:5], s[16:17]
	s_and_saveexec_b64 s[6:7], s[4:5]
	s_cbranch_execz .LBB82_5
; %bb.4:
	global_load_dwordx4 v[4:7], v[2:3], off
.LBB82_5:
	s_or_b64 exec, exec, s[6:7]
	v_or_b32_e32 v1, 0x80, v0
	v_cmp_gt_u32_e32 vcc, s26, v1
	v_mov_b64_e32 v[10:11], s[18:19]
	v_mov_b64_e32 v[8:9], s[16:17]
	s_and_saveexec_b64 s[4:5], vcc
	s_cbranch_execz .LBB82_7
; %bb.6:
	global_load_dwordx4 v[8:11], v[2:3], off offset:2048
.LBB82_7:
	s_or_b64 exec, exec, s[4:5]
	v_or_b32_e32 v1, 0x100, v0
	v_cmp_gt_u32_e32 vcc, s26, v1
	v_mov_b64_e32 v[14:15], s[18:19]
	v_mov_b64_e32 v[12:13], s[16:17]
	s_and_saveexec_b64 s[4:5], vcc
	s_cbranch_execz .LBB82_9
; %bb.8:
	v_add_co_u32_e32 v12, vcc, 0x1000, v2
	s_nop 1
	v_addc_co_u32_e32 v13, vcc, 0, v3, vcc
	global_load_dwordx4 v[12:15], v[12:13], off
.LBB82_9:
	s_or_b64 exec, exec, s[4:5]
	v_or_b32_e32 v1, 0x180, v0
	v_cmp_gt_u32_e32 vcc, s26, v1
	v_mov_b64_e32 v[18:19], s[18:19]
	v_mov_b64_e32 v[16:17], s[16:17]
	s_and_saveexec_b64 s[4:5], vcc
	s_cbranch_execz .LBB82_11
; %bb.10:
	v_add_co_u32_e32 v16, vcc, 0x1000, v2
	s_nop 1
	v_addc_co_u32_e32 v17, vcc, 0, v3, vcc
	global_load_dwordx4 v[16:19], v[16:17], off offset:2048
.LBB82_11:
	s_or_b64 exec, exec, s[4:5]
	v_or_b32_e32 v1, 0x200, v0
	v_cmp_gt_u32_e32 vcc, s26, v1
	v_mov_b64_e32 v[22:23], s[18:19]
	v_mov_b64_e32 v[20:21], s[16:17]
	s_and_saveexec_b64 s[4:5], vcc
	s_cbranch_execz .LBB82_13
; %bb.12:
	v_add_co_u32_e32 v20, vcc, 0x2000, v2
	s_nop 1
	v_addc_co_u32_e32 v21, vcc, 0, v3, vcc
	global_load_dwordx4 v[20:23], v[20:21], off
.LBB82_13:
	s_or_b64 exec, exec, s[4:5]
	v_or_b32_e32 v1, 0x280, v0
	v_cmp_gt_u32_e32 vcc, s26, v1
	v_mov_b64_e32 v[26:27], s[18:19]
	v_mov_b64_e32 v[24:25], s[16:17]
	s_and_saveexec_b64 s[4:5], vcc
	s_cbranch_execz .LBB82_15
; %bb.14:
	v_add_co_u32_e32 v24, vcc, 0x2000, v2
	s_nop 1
	v_addc_co_u32_e32 v25, vcc, 0, v3, vcc
	global_load_dwordx4 v[24:27], v[24:25], off offset:2048
.LBB82_15:
	;; [unrolled: 26-line block ×4, first 2 shown]
	s_or_b64 exec, exec, s[4:5]
	s_waitcnt vmcnt(0)
	ds_write_b128 v86, v[4:7]
	ds_write_b128 v86, v[8:11] offset:2048
	ds_write_b128 v86, v[12:15] offset:4096
	;; [unrolled: 1-line block ×9, first 2 shown]
	s_waitcnt lgkmcnt(0)
	s_barrier
.LBB82_24:
	v_mul_u32_u24_e32 v1, 0xa0, v0
	ds_read_b128 v[38:41], v1
	ds_read_b128 v[34:37], v1 offset:16
	ds_read_b128 v[30:33], v1 offset:32
	;; [unrolled: 1-line block ×9, first 2 shown]
	s_cmp_lg_u32 s2, 0
	v_mbcnt_lo_u32_b32 v82, -1, 0
	s_waitcnt lgkmcnt(0)
	s_barrier
	s_cbranch_scc0 .LBB82_84
; %bb.25:
	v_add_f64 v[42:43], v[40:41], v[36:37]
	v_add_f64 v[44:45], v[38:39], v[34:35]
	;; [unrolled: 1-line block ×16, first 2 shown]
	v_mbcnt_hi_u32_b32 v55, -1, v82
	v_add_f64 v[48:49], v[42:43], v[4:5]
	v_add_f64 v[46:47], v[44:45], v[2:3]
	v_and_b32_e32 v50, 15, v55
	v_mov_b32_dpp v44, v48 row_shr:1 row_mask:0xf bank_mask:0xf
	v_mov_b32_dpp v42, v46 row_shr:1 row_mask:0xf bank_mask:0xf
	;; [unrolled: 1-line block ×4, first 2 shown]
	v_cmp_ne_u32_e32 vcc, 0, v50
	s_and_saveexec_b64 s[4:5], vcc
; %bb.26:
	v_add_f64 v[48:49], v[48:49], v[44:45]
	v_add_f64 v[46:47], v[46:47], v[42:43]
; %bb.27:
	s_or_b64 exec, exec, s[4:5]
	s_nop 0
	v_mov_b32_dpp v42, v46 row_shr:2 row_mask:0xf bank_mask:0xf
	v_mov_b32_dpp v43, v47 row_shr:2 row_mask:0xf bank_mask:0xf
	v_mov_b32_dpp v44, v48 row_shr:2 row_mask:0xf bank_mask:0xf
	v_mov_b32_dpp v45, v49 row_shr:2 row_mask:0xf bank_mask:0xf
	v_cmp_lt_u32_e32 vcc, 1, v50
	s_and_saveexec_b64 s[4:5], vcc
; %bb.28:
	v_add_f64 v[48:49], v[48:49], v[44:45]
	v_add_f64 v[46:47], v[46:47], v[42:43]
; %bb.29:
	s_or_b64 exec, exec, s[4:5]
	s_nop 0
	v_mov_b32_dpp v42, v46 row_shr:4 row_mask:0xf bank_mask:0xf
	v_mov_b32_dpp v43, v47 row_shr:4 row_mask:0xf bank_mask:0xf
	v_mov_b32_dpp v44, v48 row_shr:4 row_mask:0xf bank_mask:0xf
	v_mov_b32_dpp v45, v49 row_shr:4 row_mask:0xf bank_mask:0xf
	v_cmp_lt_u32_e32 vcc, 3, v50
	;; [unrolled: 12-line block ×3, first 2 shown]
	s_and_saveexec_b64 s[4:5], vcc
; %bb.32:
	v_add_f64 v[48:49], v[48:49], v[44:45]
	v_add_f64 v[46:47], v[46:47], v[42:43]
; %bb.33:
	s_or_b64 exec, exec, s[4:5]
	v_and_b32_e32 v50, 16, v55
	v_mov_b32_dpp v42, v46 row_bcast:15 row_mask:0xf bank_mask:0xf
	v_mov_b32_dpp v43, v47 row_bcast:15 row_mask:0xf bank_mask:0xf
	;; [unrolled: 1-line block ×4, first 2 shown]
	v_cmp_ne_u32_e32 vcc, 0, v50
	s_and_saveexec_b64 s[4:5], vcc
; %bb.34:
	v_add_f64 v[48:49], v[48:49], v[44:45]
	v_add_f64 v[46:47], v[46:47], v[42:43]
; %bb.35:
	s_or_b64 exec, exec, s[4:5]
	s_nop 0
	v_mov_b32_dpp v42, v46 row_bcast:31 row_mask:0xf bank_mask:0xf
	v_mov_b32_dpp v43, v47 row_bcast:31 row_mask:0xf bank_mask:0xf
	;; [unrolled: 1-line block ×4, first 2 shown]
	v_cmp_lt_u32_e32 vcc, 31, v55
	s_and_saveexec_b64 s[4:5], vcc
; %bb.36:
	v_add_f64 v[48:49], v[48:49], v[44:45]
	v_add_f64 v[46:47], v[46:47], v[42:43]
; %bb.37:
	s_or_b64 exec, exec, s[4:5]
	v_or_b32_e32 v42, 63, v0
	v_lshrrev_b32_e32 v54, 6, v0
	v_cmp_eq_u32_e32 vcc, v0, v42
	s_and_saveexec_b64 s[4:5], vcc
; %bb.38:
	v_lshlrev_b32_e32 v42, 4, v54
	ds_write_b128 v42, v[46:49]
; %bb.39:
	s_or_b64 exec, exec, s[4:5]
	v_cmp_gt_u32_e32 vcc, 2, v0
	s_waitcnt lgkmcnt(0)
	s_barrier
	s_and_saveexec_b64 s[4:5], vcc
	s_cbranch_execz .LBB82_43
; %bb.40:
	ds_read_b128 v[42:45], v86
	v_and_b32_e32 v56, 1, v55
	v_cmp_eq_u32_e32 vcc, 1, v56
	s_waitcnt lgkmcnt(0)
	v_mov_b32_dpp v50, v42 row_shr:1 row_mask:0xf bank_mask:0xf
	v_mov_b32_dpp v51, v43 row_shr:1 row_mask:0xf bank_mask:0xf
	;; [unrolled: 1-line block ×4, first 2 shown]
	s_and_saveexec_b64 s[6:7], vcc
; %bb.41:
	v_add_f64 v[44:45], v[44:45], v[52:53]
	v_add_f64 v[42:43], v[42:43], v[50:51]
; %bb.42:
	s_or_b64 exec, exec, s[6:7]
	ds_write_b128 v86, v[42:45]
.LBB82_43:
	s_or_b64 exec, exec, s[4:5]
	v_cmp_gt_u32_e32 vcc, 64, v0
	v_cmp_lt_u32_e64 s[4:5], 63, v0
	v_mov_b64_e32 v[44:45], 0
	v_mov_b64_e32 v[42:43], 0
	s_waitcnt lgkmcnt(0)
	s_barrier
	s_and_saveexec_b64 s[6:7], s[4:5]
	s_cbranch_execz .LBB82_45
; %bb.44:
	v_lshl_add_u32 v42, v54, 4, -16
	ds_read_b128 v[42:45], v42
	s_waitcnt lgkmcnt(0)
	v_add_f64 v[46:47], v[46:47], v[42:43]
	v_add_f64 v[48:49], v[48:49], v[44:45]
.LBB82_45:
	s_or_b64 exec, exec, s[6:7]
	v_subrev_co_u32_e64 v50, s[4:5], 1, v55
	v_and_b32_e32 v51, 64, v55
	v_cmp_lt_i32_e64 s[6:7], v50, v51
	s_nop 1
	v_cndmask_b32_e64 v50, v50, v55, s[6:7]
	v_lshlrev_b32_e32 v50, 2, v50
	ds_bpermute_b32 v67, v50, v46
	ds_bpermute_b32 v69, v50, v47
	;; [unrolled: 1-line block ×4, first 2 shown]
	s_and_saveexec_b64 s[6:7], vcc
	s_cbranch_execz .LBB82_89
; %bb.46:
	v_mov_b32_e32 v51, 0
	ds_read_b128 v[46:49], v51 offset:16
	s_and_saveexec_b64 s[8:9], s[4:5]
	s_cbranch_execz .LBB82_48
; %bb.47:
	s_add_i32 s16, s2, 64
	s_mov_b32 s17, 0
	s_lshl_b64 s[18:19], s[16:17], 4
	s_add_u32 s18, s12, s18
	s_addc_u32 s19, s13, s19
	v_mov_b32_e32 v50, 1
	v_mov_b32_e32 v52, s16
	s_waitcnt lgkmcnt(0)
	global_store_dword v51, v46, s[18:19] sc1
	global_store_dword v51, v47, s[18:19] offset:4 sc1
	global_store_dword v51, v48, s[18:19] offset:8 sc1
	;; [unrolled: 1-line block ×3, first 2 shown]
	s_waitcnt vmcnt(0)
	global_store_byte v52, v50, s[24:25] sc1
.LBB82_48:
	s_or_b64 exec, exec, s[8:9]
	v_xad_u32 v54, v55, -1, s2
	v_add_u32_e32 v50, 64, v54
	global_load_ubyte v70, v50, s[24:25] sc1
	s_waitcnt vmcnt(0)
	v_cmp_eq_u16_e32 vcc, 0, v70
	s_and_saveexec_b64 s[8:9], vcc
	s_cbranch_execz .LBB82_52
; %bb.49:
	v_lshl_add_u64 v[52:53], s[24:25], 0, v[50:51]
	s_mov_b64 s[16:17], 0
.LBB82_50:                              ; =>This Inner Loop Header: Depth=1
	global_load_ubyte v70, v[52:53], off sc1
	s_waitcnt vmcnt(0)
	v_cmp_ne_u16_e32 vcc, 0, v70
	s_or_b64 s[16:17], vcc, s[16:17]
	s_andn2_b64 exec, exec, s[16:17]
	s_cbranch_execnz .LBB82_50
; %bb.51:
	s_or_b64 exec, exec, s[16:17]
.LBB82_52:
	s_or_b64 exec, exec, s[8:9]
	v_mov_b32_e32 v52, s15
	v_mov_b32_e32 v53, s13
	v_cmp_eq_u16_e32 vcc, 1, v70
	v_mov_b32_e32 v56, s12
	s_waitcnt vmcnt(0)
	v_cndmask_b32_e32 v53, v52, v53, vcc
	v_mov_b32_e32 v52, s14
	v_cndmask_b32_e32 v52, v52, v56, vcc
	v_lshl_add_u64 v[50:51], v[50:51], 4, v[52:53]
	s_waitcnt lgkmcnt(0)
	global_load_dword v58, v[50:51], off sc1
	global_load_dword v59, v[50:51], off offset:4 sc1
	global_load_dword v60, v[50:51], off offset:8 sc1
	;; [unrolled: 1-line block ×3, first 2 shown]
	v_cmp_eq_u16_e32 vcc, 2, v70
	v_lshlrev_b64 v[56:57], v55, -1
	v_and_b32_e32 v63, 63, v55
	v_and_b32_e32 v50, vcc_hi, v57
	v_and_b32_e32 v62, vcc_lo, v56
	v_cmp_ne_u32_e32 vcc, 63, v63
	v_or_b32_e32 v50, 0x80000000, v50
	v_ffbl_b32_e32 v50, v50
	v_addc_co_u32_e32 v51, vcc, 0, v55, vcc
	v_lshlrev_b32_e32 v71, 2, v51
	v_add_u32_e32 v64, 32, v50
	v_ffbl_b32_e32 v62, v62
	v_min_u32_e32 v62, v62, v64
	v_add_u32_e32 v72, 1, v55
	v_cmp_le_u32_e32 vcc, v72, v62
	s_waitcnt vmcnt(3)
	ds_bpermute_b32 v52, v71, v58
	s_waitcnt vmcnt(2)
	ds_bpermute_b32 v53, v71, v59
	;; [unrolled: 2-line block ×4, first 2 shown]
	s_and_saveexec_b64 s[8:9], vcc
	s_cbranch_execz .LBB82_54
; %bb.53:
	s_waitcnt lgkmcnt(2)
	v_add_f64 v[58:59], v[58:59], v[52:53]
	s_waitcnt lgkmcnt(0)
	v_add_f64 v[60:61], v[60:61], v[50:51]
.LBB82_54:
	s_or_b64 exec, exec, s[8:9]
	v_cmp_gt_u32_e32 vcc, 62, v63
	v_add_u32_e32 v74, 2, v55
	s_waitcnt lgkmcnt(1)
	v_cndmask_b32_e64 v50, 0, 2, vcc
	v_add_lshl_u32 v73, v50, v55, 2
	ds_bpermute_b32 v52, v73, v58
	ds_bpermute_b32 v53, v73, v59
	ds_bpermute_b32 v50, v73, v60
	s_waitcnt lgkmcnt(3)
	ds_bpermute_b32 v51, v73, v61
	v_cmp_le_u32_e32 vcc, v74, v62
	s_and_saveexec_b64 s[8:9], vcc
	s_cbranch_execz .LBB82_56
; %bb.55:
	s_waitcnt lgkmcnt(2)
	v_add_f64 v[58:59], v[58:59], v[52:53]
	s_waitcnt lgkmcnt(0)
	v_add_f64 v[60:61], v[60:61], v[50:51]
.LBB82_56:
	s_or_b64 exec, exec, s[8:9]
	v_cmp_gt_u32_e32 vcc, 60, v63
	v_add_u32_e32 v76, 4, v55
	s_waitcnt lgkmcnt(1)
	v_cndmask_b32_e64 v50, 0, 4, vcc
	v_add_lshl_u32 v75, v50, v55, 2
	ds_bpermute_b32 v52, v75, v58
	ds_bpermute_b32 v53, v75, v59
	ds_bpermute_b32 v50, v75, v60
	s_waitcnt lgkmcnt(3)
	ds_bpermute_b32 v51, v75, v61
	v_cmp_le_u32_e32 vcc, v76, v62
	;; [unrolled: 20-line block ×3, first 2 shown]
	s_and_saveexec_b64 s[8:9], vcc
	s_cbranch_execz .LBB82_60
; %bb.59:
	s_waitcnt lgkmcnt(2)
	v_add_f64 v[58:59], v[58:59], v[52:53]
	s_waitcnt lgkmcnt(0)
	v_add_f64 v[60:61], v[60:61], v[50:51]
.LBB82_60:
	s_or_b64 exec, exec, s[8:9]
	v_cmp_gt_u32_e32 vcc, 48, v63
	v_add_u32_e32 v80, 16, v55
	s_waitcnt lgkmcnt(1)
	v_cndmask_b32_e64 v50, 0, 16, vcc
	v_add_lshl_u32 v79, v50, v55, 2
	ds_bpermute_b32 v50, v79, v58
	s_waitcnt lgkmcnt(1)
	ds_bpermute_b32 v51, v79, v59
	ds_bpermute_b32 v52, v79, v60
	;; [unrolled: 1-line block ×3, first 2 shown]
	v_cmp_le_u32_e32 vcc, v80, v62
	s_and_saveexec_b64 s[8:9], vcc
	s_cbranch_execz .LBB82_62
; %bb.61:
	s_waitcnt lgkmcnt(2)
	v_add_f64 v[58:59], v[58:59], v[50:51]
	s_waitcnt lgkmcnt(0)
	v_add_f64 v[60:61], v[60:61], v[52:53]
.LBB82_62:
	s_or_b64 exec, exec, s[8:9]
	s_waitcnt lgkmcnt(3)
	v_mov_b32_e32 v50, 0x80
	v_lshl_or_b32 v81, v55, 2, v50
	ds_bpermute_b32 v50, v81, v58
	s_waitcnt lgkmcnt(3)
	ds_bpermute_b32 v51, v81, v59
	s_waitcnt lgkmcnt(3)
	;; [unrolled: 2-line block ×3, first 2 shown]
	ds_bpermute_b32 v53, v81, v61
	v_add_u32_e32 v83, 32, v55
	v_cmp_le_u32_e32 vcc, v83, v62
	s_and_saveexec_b64 s[8:9], vcc
	s_cbranch_execz .LBB82_64
; %bb.63:
	s_waitcnt lgkmcnt(2)
	v_add_f64 v[58:59], v[58:59], v[50:51]
	s_waitcnt lgkmcnt(0)
	v_add_f64 v[60:61], v[60:61], v[52:53]
.LBB82_64:
	s_or_b64 exec, exec, s[8:9]
	v_mov_b32_e32 v55, 0
	v_mov_b32_e32 v84, 2
	s_branch .LBB82_67
.LBB82_65:                              ;   in Loop: Header=BB82_67 Depth=1
	s_or_b64 exec, exec, s[8:9]
	v_subrev_u32_e32 v54, 64, v54
	v_add_f64 v[58:59], v[50:51], v[58:59]
	v_add_f64 v[60:61], v[52:53], v[60:61]
	s_mov_b64 s[8:9], 0
.LBB82_66:                              ;   in Loop: Header=BB82_67 Depth=1
	s_and_b64 vcc, exec, s[8:9]
	s_cbranch_vccnz .LBB82_85
.LBB82_67:                              ; =>This Loop Header: Depth=1
                                        ;     Child Loop BB82_70 Depth 2
	v_cmp_ne_u16_sdwa s[8:9], v70, v84 src0_sel:BYTE_0 src1_sel:DWORD
	s_waitcnt lgkmcnt(2)
	v_mov_b64_e32 v[50:51], v[58:59]
	s_waitcnt lgkmcnt(0)
	v_mov_b64_e32 v[52:53], v[60:61]
	s_cmp_lg_u64 s[8:9], exec
	s_mov_b64 s[8:9], -1
                                        ; implicit-def: $vgpr70
                                        ; implicit-def: $vgpr58_vgpr59
                                        ; implicit-def: $vgpr60_vgpr61
	s_cbranch_scc1 .LBB82_66
; %bb.68:                               ;   in Loop: Header=BB82_67 Depth=1
	global_load_ubyte v70, v54, s[24:25] sc1
	s_waitcnt vmcnt(0)
	v_cmp_eq_u16_e32 vcc, 0, v70
	s_and_saveexec_b64 s[8:9], vcc
	s_cbranch_execz .LBB82_72
; %bb.69:                               ;   in Loop: Header=BB82_67 Depth=1
	v_lshl_add_u64 v[58:59], s[24:25], 0, v[54:55]
	s_mov_b64 s[16:17], 0
.LBB82_70:                              ;   Parent Loop BB82_67 Depth=1
                                        ; =>  This Inner Loop Header: Depth=2
	global_load_ubyte v70, v[58:59], off sc1
	s_waitcnt vmcnt(0)
	v_cmp_ne_u16_e32 vcc, 0, v70
	s_or_b64 s[16:17], vcc, s[16:17]
	s_andn2_b64 exec, exec, s[16:17]
	s_cbranch_execnz .LBB82_70
; %bb.71:                               ;   in Loop: Header=BB82_67 Depth=1
	s_or_b64 exec, exec, s[16:17]
.LBB82_72:                              ;   in Loop: Header=BB82_67 Depth=1
	s_or_b64 exec, exec, s[8:9]
	v_mov_b32_e32 v58, s15
	v_mov_b32_e32 v59, s13
	v_cmp_eq_u16_e32 vcc, 1, v70
	v_mov_b32_e32 v60, s12
	s_waitcnt vmcnt(0)
	v_cndmask_b32_e32 v59, v58, v59, vcc
	v_mov_b32_e32 v58, s14
	v_cndmask_b32_e32 v58, v58, v60, vcc
	v_lshl_add_u64 v[62:63], v[54:55], 4, v[58:59]
	global_load_dword v58, v[62:63], off sc1
	global_load_dword v59, v[62:63], off offset:4 sc1
	global_load_dword v60, v[62:63], off offset:8 sc1
	;; [unrolled: 1-line block ×3, first 2 shown]
	v_cmp_eq_u16_e32 vcc, 2, v70
	s_waitcnt vmcnt(3)
	ds_bpermute_b32 v64, v71, v58
	v_and_b32_e32 v62, vcc_hi, v57
	v_or_b32_e32 v62, 0x80000000, v62
	v_ffbl_b32_e32 v87, v62
	s_waitcnt vmcnt(2)
	ds_bpermute_b32 v65, v71, v59
	s_waitcnt vmcnt(1)
	ds_bpermute_b32 v62, v71, v60
	;; [unrolled: 2-line block ×3, first 2 shown]
	v_and_b32_e32 v85, vcc_lo, v56
	v_add_u32_e32 v87, 32, v87
	v_ffbl_b32_e32 v85, v85
	v_min_u32_e32 v85, v85, v87
	v_cmp_le_u32_e32 vcc, v72, v85
	s_and_saveexec_b64 s[8:9], vcc
	s_cbranch_execz .LBB82_74
; %bb.73:                               ;   in Loop: Header=BB82_67 Depth=1
	s_waitcnt lgkmcnt(2)
	v_add_f64 v[58:59], v[58:59], v[64:65]
	s_waitcnt lgkmcnt(0)
	v_add_f64 v[60:61], v[60:61], v[62:63]
.LBB82_74:                              ;   in Loop: Header=BB82_67 Depth=1
	s_or_b64 exec, exec, s[8:9]
	s_waitcnt lgkmcnt(3)
	ds_bpermute_b32 v64, v73, v58
	s_waitcnt lgkmcnt(3)
	ds_bpermute_b32 v65, v73, v59
	s_waitcnt lgkmcnt(3)
	ds_bpermute_b32 v62, v73, v60
	s_waitcnt lgkmcnt(3)
	ds_bpermute_b32 v63, v73, v61
	v_cmp_le_u32_e32 vcc, v74, v85
	s_and_saveexec_b64 s[8:9], vcc
	s_cbranch_execz .LBB82_76
; %bb.75:                               ;   in Loop: Header=BB82_67 Depth=1
	s_waitcnt lgkmcnt(2)
	v_add_f64 v[58:59], v[58:59], v[64:65]
	s_waitcnt lgkmcnt(0)
	v_add_f64 v[60:61], v[60:61], v[62:63]
.LBB82_76:                              ;   in Loop: Header=BB82_67 Depth=1
	s_or_b64 exec, exec, s[8:9]
	s_waitcnt lgkmcnt(3)
	ds_bpermute_b32 v64, v75, v58
	s_waitcnt lgkmcnt(3)
	ds_bpermute_b32 v65, v75, v59
	s_waitcnt lgkmcnt(3)
	ds_bpermute_b32 v62, v75, v60
	s_waitcnt lgkmcnt(3)
	ds_bpermute_b32 v63, v75, v61
	;; [unrolled: 18-line block ×5, first 2 shown]
	v_cmp_le_u32_e32 vcc, v83, v85
	s_and_saveexec_b64 s[8:9], vcc
	s_cbranch_execz .LBB82_65
; %bb.83:                               ;   in Loop: Header=BB82_67 Depth=1
	s_waitcnt lgkmcnt(2)
	v_add_f64 v[58:59], v[58:59], v[64:65]
	s_waitcnt lgkmcnt(0)
	v_add_f64 v[60:61], v[60:61], v[62:63]
	s_branch .LBB82_65
.LBB82_84:
                                        ; implicit-def: $vgpr42_vgpr43
                                        ; implicit-def: $vgpr46_vgpr47
                                        ; implicit-def: $vgpr50_vgpr51
                                        ; implicit-def: $vgpr54_vgpr55
                                        ; implicit-def: $vgpr58_vgpr59
                                        ; implicit-def: $vgpr62_vgpr63
                                        ; implicit-def: $vgpr66_vgpr67
                                        ; implicit-def: $vgpr70_vgpr71
                                        ; implicit-def: $vgpr74_vgpr75
                                        ; implicit-def: $vgpr78_vgpr79
	s_load_dwordx4 s[4:7], s[0:1], 0x58
	s_cbranch_execnz .LBB82_90
	s_branch .LBB82_117
.LBB82_85:
	s_and_saveexec_b64 s[8:9], s[4:5]
	s_cbranch_execz .LBB82_87
; %bb.86:
	s_add_i32 s2, s2, 64
	s_mov_b32 s3, 0
	s_lshl_b64 s[12:13], s[2:3], 4
	s_add_u32 s12, s14, s12
	v_add_f64 v[46:47], v[46:47], v[50:51]
	s_addc_u32 s13, s15, s13
	v_mov_b32_e32 v54, 0
	v_add_f64 v[48:49], v[48:49], v[52:53]
	global_store_dword v54, v46, s[12:13] sc1
	global_store_dword v54, v47, s[12:13] offset:4 sc1
	global_store_dword v54, v48, s[12:13] offset:8 sc1
	;; [unrolled: 1-line block ×3, first 2 shown]
	v_mov_b32_e32 v46, 2
	v_mov_b32_e32 v47, s2
	s_waitcnt vmcnt(0) lgkmcnt(0)
	global_store_byte v47, v46, s[24:25] sc1
.LBB82_87:
	s_or_b64 exec, exec, s[8:9]
	v_cmp_eq_u32_e32 vcc, 0, v0
	s_and_b64 exec, exec, vcc
; %bb.88:
	v_mov_b32_e32 v46, 0
	ds_write_b128 v46, v[50:53] offset:16
.LBB82_89:
	s_or_b64 exec, exec, s[6:7]
	s_waitcnt lgkmcnt(3)
	v_cndmask_b32_e64 v46, v67, v42, s[4:5]
	v_mov_b32_e32 v42, 0
	s_waitcnt lgkmcnt(2)
	v_cndmask_b32_e64 v47, v69, v43, s[4:5]
	s_waitcnt lgkmcnt(0)
	v_cndmask_b32_e64 v49, v68, v45, s[4:5]
	v_cndmask_b32_e64 v48, v66, v44, s[4:5]
	s_barrier
	ds_read_b128 v[42:45], v42 offset:16
	v_add_f64 v[46:47], v[38:39], v[46:47]
	v_add_f64 v[48:49], v[40:41], v[48:49]
	v_cmp_eq_u32_e32 vcc, 0, v0
	s_nop 1
	v_cndmask_b32_e32 v49, v49, v41, vcc
	v_cndmask_b32_e32 v48, v48, v40, vcc
	v_cndmask_b32_e32 v47, v47, v39, vcc
	v_cndmask_b32_e32 v46, v46, v38, vcc
	s_waitcnt lgkmcnt(0)
	v_add_f64 v[42:43], v[46:47], v[42:43]
	v_add_f64 v[44:45], v[48:49], v[44:45]
	;; [unrolled: 1-line block ×20, first 2 shown]
	s_load_dwordx4 s[4:7], s[0:1], 0x58
	s_branch .LBB82_117
.LBB82_90:
	s_load_dword s8, s[0:1], 0x68
	v_cmp_eq_u32_e32 vcc, 0, v0
	v_cmp_ne_u32_e64 s[2:3], 0, v0
	v_mov_b64_e32 v[44:45], v[40:41]
	v_mov_b64_e32 v[42:43], v[38:39]
	s_waitcnt lgkmcnt(0)
	s_bitcmp1_b32 s8, 0
	s_cselect_b64 s[8:9], -1, 0
	s_and_b64 s[12:13], vcc, s[8:9]
	s_and_saveexec_b64 s[8:9], s[12:13]
	s_cbranch_execz .LBB82_92
; %bb.91:
	v_mov_b32_e32 v42, 0
	global_load_dwordx4 v[42:45], v42, s[4:5]
	s_waitcnt vmcnt(0)
	v_add_f64 v[42:43], v[38:39], v[42:43]
	v_add_f64 v[44:45], v[40:41], v[44:45]
.LBB82_92:
	s_or_b64 exec, exec, s[8:9]
	v_add_f64 v[46:47], v[34:35], v[42:43]
	v_add_f64 v[48:49], v[36:37], v[44:45]
	;; [unrolled: 1-line block ×16, first 2 shown]
	v_mbcnt_hi_u32_b32 v87, -1, v82
	v_add_f64 v[78:79], v[2:3], v[74:75]
	v_add_f64 v[80:81], v[4:5], v[76:77]
	v_and_b32_e32 v92, 15, v87
	v_mov_b32_dpp v88, v78 row_shr:1 row_mask:0xf bank_mask:0xf
	v_mov_b32_dpp v89, v79 row_shr:1 row_mask:0xf bank_mask:0xf
	v_mov_b32_dpp v90, v80 row_shr:1 row_mask:0xf bank_mask:0xf
	v_mov_b32_dpp v91, v81 row_shr:1 row_mask:0xf bank_mask:0xf
	v_cmp_ne_u32_e64 s[4:5], 0, v92
	v_mov_b64_e32 v[38:39], v[78:79]
	v_mov_b64_e32 v[40:41], v[80:81]
	v_mov_b32_e32 v83, v81
	v_mov_b32_e32 v82, v80
	;; [unrolled: 1-line block ×4, first 2 shown]
	s_and_saveexec_b64 s[8:9], s[4:5]
; %bb.93:
	v_add_f64 v[40:41], v[80:81], v[90:91]
	v_add_f64 v[38:39], v[78:79], v[88:89]
	v_mov_b32_e32 v83, v41
	v_mov_b32_e32 v82, v40
	;; [unrolled: 1-line block ×4, first 2 shown]
; %bb.94:
	s_or_b64 exec, exec, s[8:9]
	s_nop 0
	v_mov_b32_dpp v88, v84 row_shr:2 row_mask:0xf bank_mask:0xf
	v_mov_b32_dpp v89, v85 row_shr:2 row_mask:0xf bank_mask:0xf
	v_mov_b32_dpp v90, v82 row_shr:2 row_mask:0xf bank_mask:0xf
	v_mov_b32_dpp v91, v83 row_shr:2 row_mask:0xf bank_mask:0xf
	v_cmp_lt_u32_e64 s[4:5], 1, v92
	s_and_saveexec_b64 s[8:9], s[4:5]
; %bb.95:
	v_add_f64 v[82:83], v[40:41], v[90:91]
	v_add_f64 v[84:85], v[38:39], v[88:89]
	v_mov_b64_e32 v[38:39], v[84:85]
	v_mov_b64_e32 v[40:41], v[82:83]
; %bb.96:
	s_or_b64 exec, exec, s[8:9]
	v_mov_b32_dpp v88, v84 row_shr:4 row_mask:0xf bank_mask:0xf
	v_mov_b32_dpp v89, v85 row_shr:4 row_mask:0xf bank_mask:0xf
	v_mov_b32_dpp v90, v82 row_shr:4 row_mask:0xf bank_mask:0xf
	v_mov_b32_dpp v91, v83 row_shr:4 row_mask:0xf bank_mask:0xf
	v_cmp_lt_u32_e64 s[4:5], 3, v92
	s_and_saveexec_b64 s[8:9], s[4:5]
; %bb.97:
	v_add_f64 v[82:83], v[40:41], v[90:91]
	v_add_f64 v[84:85], v[38:39], v[88:89]
	v_mov_b64_e32 v[38:39], v[84:85]
	v_mov_b64_e32 v[40:41], v[82:83]
; %bb.98:
	s_or_b64 exec, exec, s[8:9]
	v_mov_b32_dpp v88, v84 row_shr:8 row_mask:0xf bank_mask:0xf
	v_mov_b32_dpp v89, v85 row_shr:8 row_mask:0xf bank_mask:0xf
	v_mov_b32_dpp v90, v82 row_shr:8 row_mask:0xf bank_mask:0xf
	v_mov_b32_dpp v91, v83 row_shr:8 row_mask:0xf bank_mask:0xf
	v_cmp_lt_u32_e64 s[4:5], 7, v92
	s_and_saveexec_b64 s[8:9], s[4:5]
; %bb.99:
	v_add_f64 v[82:83], v[40:41], v[90:91]
	v_add_f64 v[84:85], v[38:39], v[88:89]
	v_mov_b64_e32 v[38:39], v[84:85]
	v_mov_b64_e32 v[40:41], v[82:83]
; %bb.100:
	s_or_b64 exec, exec, s[8:9]
	v_and_b32_e32 v92, 16, v87
	v_mov_b32_dpp v88, v84 row_bcast:15 row_mask:0xf bank_mask:0xf
	v_mov_b32_dpp v89, v85 row_bcast:15 row_mask:0xf bank_mask:0xf
	;; [unrolled: 1-line block ×4, first 2 shown]
	v_cmp_ne_u32_e64 s[4:5], 0, v92
	s_and_saveexec_b64 s[8:9], s[4:5]
; %bb.101:
	v_add_f64 v[40:41], v[40:41], v[90:91]
	v_add_f64 v[38:39], v[38:39], v[88:89]
	v_mov_b32_e32 v83, v41
	v_mov_b32_e32 v82, v40
	;; [unrolled: 1-line block ×4, first 2 shown]
; %bb.102:
	s_or_b64 exec, exec, s[8:9]
	s_nop 0
	v_mov_b32_dpp v84, v84 row_bcast:31 row_mask:0xf bank_mask:0xf
	v_mov_b32_dpp v85, v85 row_bcast:31 row_mask:0xf bank_mask:0xf
	;; [unrolled: 1-line block ×4, first 2 shown]
	v_cmp_lt_u32_e64 s[4:5], 31, v87
	s_and_saveexec_b64 s[8:9], s[4:5]
; %bb.103:
	v_add_f64 v[40:41], v[40:41], v[82:83]
	v_add_f64 v[38:39], v[38:39], v[84:85]
; %bb.104:
	s_or_b64 exec, exec, s[8:9]
	v_or_b32_e32 v82, 63, v0
	v_lshrrev_b32_e32 v92, 6, v0
	v_cmp_eq_u32_e64 s[4:5], v0, v82
	s_and_saveexec_b64 s[8:9], s[4:5]
; %bb.105:
	v_lshlrev_b32_e32 v82, 4, v92
	ds_write_b128 v82, v[38:41]
; %bb.106:
	s_or_b64 exec, exec, s[8:9]
	v_cmp_gt_u32_e64 s[4:5], 2, v0
	s_waitcnt lgkmcnt(0)
	s_barrier
	s_and_saveexec_b64 s[8:9], s[4:5]
	s_cbranch_execz .LBB82_110
; %bb.107:
	s_movk_i32 s4, 0xff70
	v_mad_i32_i24 v82, v0, s4, v1
	ds_read_b128 v[82:85], v82
	v_and_b32_e32 v94, 1, v87
	v_mul_i32_i24_e32 v93, 0xffffff70, v0
	v_cmp_eq_u32_e64 s[4:5], 1, v94
	s_waitcnt lgkmcnt(0)
	v_mov_b32_dpp v88, v82 row_shr:1 row_mask:0xf bank_mask:0xf
	v_mov_b32_dpp v89, v83 row_shr:1 row_mask:0xf bank_mask:0xf
	;; [unrolled: 1-line block ×4, first 2 shown]
	s_and_saveexec_b64 s[12:13], s[4:5]
; %bb.108:
	v_add_f64 v[84:85], v[84:85], v[90:91]
	v_add_f64 v[82:83], v[82:83], v[88:89]
; %bb.109:
	s_or_b64 exec, exec, s[12:13]
	v_add_u32_e32 v88, v1, v93
	ds_write_b128 v88, v[82:85]
.LBB82_110:
	s_or_b64 exec, exec, s[8:9]
	v_cmp_lt_u32_e64 s[4:5], 63, v0
	v_mov_b64_e32 v[84:85], 0
	v_mov_b64_e32 v[82:83], 0
	s_waitcnt lgkmcnt(0)
	s_barrier
	s_and_saveexec_b64 s[8:9], s[4:5]
	s_cbranch_execz .LBB82_112
; %bb.111:
	v_lshl_add_u32 v82, v92, 4, -16
	ds_read_b128 v[82:85], v82
	s_waitcnt lgkmcnt(0)
	v_add_f64 v[38:39], v[38:39], v[82:83]
	v_add_f64 v[40:41], v[40:41], v[84:85]
.LBB82_112:
	s_or_b64 exec, exec, s[8:9]
	v_add_u32_e32 v88, -1, v87
	v_and_b32_e32 v89, 64, v87
	v_cmp_lt_i32_e64 s[4:5], v88, v89
	s_nop 1
	v_cndmask_b32_e64 v88, v88, v87, s[4:5]
	v_lshlrev_b32_e32 v88, 2, v88
	ds_bpermute_b32 v38, v88, v38
	ds_bpermute_b32 v39, v88, v39
	;; [unrolled: 1-line block ×4, first 2 shown]
	s_and_saveexec_b64 s[4:5], s[2:3]
	s_cbranch_execz .LBB82_114
; %bb.113:
	v_cmp_eq_u32_e64 s[2:3], 0, v87
	s_waitcnt lgkmcnt(0)
	s_nop 0
	v_cndmask_b32_e64 v41, v41, v85, s[2:3]
	v_cndmask_b32_e64 v40, v40, v84, s[2:3]
	;; [unrolled: 1-line block ×4, first 2 shown]
	v_add_f64 v[42:43], v[42:43], v[38:39]
	v_add_f64 v[44:45], v[44:45], v[40:41]
	;; [unrolled: 1-line block ×20, first 2 shown]
.LBB82_114:
	s_or_b64 exec, exec, s[4:5]
	s_and_saveexec_b64 s[2:3], vcc
	s_cbranch_execz .LBB82_116
; %bb.115:
	v_mov_b32_e32 v6, 0
	ds_read_b128 v[2:5], v6 offset:16
	s_waitcnt lgkmcnt(0)
	global_store_dword v6, v2, s[14:15] offset:1024 sc1
	global_store_dword v6, v3, s[14:15] offset:1028 sc1
	;; [unrolled: 1-line block ×4, first 2 shown]
	v_mov_b32_e32 v2, 2
	s_waitcnt vmcnt(0)
	global_store_byte v6, v2, s[24:25] offset:64 sc1
.LBB82_116:
	s_or_b64 exec, exec, s[2:3]
.LBB82_117:
	s_add_u32 s2, s10, s22
	s_addc_u32 s3, s11, s23
	s_waitcnt lgkmcnt(0)
	s_mov_b64 s[4:5], -1
	s_and_b64 vcc, exec, s[20:21]
	s_barrier
	s_cbranch_vccz .LBB82_119
; %bb.118:
	v_mov_b32_e32 v87, 0
	ds_write_b128 v1, v[42:45]
	ds_write_b128 v1, v[46:49] offset:16
	ds_write_b128 v1, v[50:53] offset:32
	;; [unrolled: 1-line block ×9, first 2 shown]
	s_waitcnt lgkmcnt(0)
	s_barrier
	ds_read_b128 v[2:5], v86
	ds_read_b128 v[6:9], v86 offset:2048
	ds_read_b128 v[10:13], v86 offset:4096
	;; [unrolled: 1-line block ×9, first 2 shown]
	v_lshl_add_u64 v[82:83], s[2:3], 0, v[86:87]
	s_movk_i32 s4, 0x1000
	s_waitcnt lgkmcnt(9)
	global_store_dwordx4 v86, v[2:5], s[2:3]
	s_waitcnt lgkmcnt(8)
	global_store_dwordx4 v86, v[6:9], s[2:3] offset:2048
	v_add_co_u32_e32 v2, vcc, s4, v82
	s_movk_i32 s4, 0x2000
	s_nop 0
	v_addc_co_u32_e32 v3, vcc, 0, v83, vcc
	v_add_co_u32_e32 v4, vcc, s4, v82
	s_mov_b64 s[4:5], 0
	s_nop 0
	v_addc_co_u32_e32 v5, vcc, 0, v83, vcc
	s_waitcnt lgkmcnt(7)
	global_store_dwordx4 v[4:5], v[10:13], off offset:-4096
	s_waitcnt lgkmcnt(6)
	global_store_dwordx4 v[2:3], v[14:17], off offset:2048
	s_waitcnt lgkmcnt(5)
	global_store_dwordx4 v[4:5], v[18:21], off
	s_waitcnt lgkmcnt(4)
	global_store_dwordx4 v[4:5], v[22:25], off offset:2048
	v_add_co_u32_e32 v2, vcc, 0x3000, v82
	s_nop 1
	v_addc_co_u32_e32 v3, vcc, 0, v83, vcc
	s_waitcnt lgkmcnt(3)
	global_store_dwordx4 v[2:3], v[26:29], off
	s_waitcnt lgkmcnt(2)
	global_store_dwordx4 v[2:3], v[30:33], off offset:2048
	v_add_co_u32_e32 v2, vcc, 0x4000, v82
	s_nop 1
	v_addc_co_u32_e32 v3, vcc, 0, v83, vcc
	s_waitcnt lgkmcnt(1)
	global_store_dwordx4 v[2:3], v[34:37], off
	s_waitcnt lgkmcnt(0)
	global_store_dwordx4 v[2:3], v[38:41], off offset:2048
.LBB82_119:
	s_andn2_b64 vcc, exec, s[4:5]
	s_cbranch_vccnz .LBB82_175
; %bb.120:
	s_movk_i32 s4, 0xff70
	ds_write_b128 v1, v[42:45]
	ds_write_b128 v1, v[46:49] offset:16
	ds_write_b128 v1, v[50:53] offset:32
	;; [unrolled: 1-line block ×9, first 2 shown]
	v_mad_i32_i24 v1, v0, s4, v1
	s_waitcnt lgkmcnt(0)
	s_barrier
	ds_read_b128 v[8:11], v1
	ds_read_b128 v[4:7], v1 offset:2048
	ds_read_b128 v[12:15], v1 offset:4096
	;; [unrolled: 1-line block ×9, first 2 shown]
	v_mov_b32_e32 v87, 0
	v_lshl_add_u64 v[2:3], s[2:3], 0, v[86:87]
	v_cmp_gt_u32_e32 vcc, s26, v0
	s_and_saveexec_b64 s[2:3], vcc
	s_cbranch_execz .LBB82_122
; %bb.121:
	s_waitcnt lgkmcnt(9)
	global_store_dwordx4 v[2:3], v[8:11], off
.LBB82_122:
	s_or_b64 exec, exec, s[2:3]
	v_or_b32_e32 v1, 0x80, v0
	v_cmp_gt_u32_e32 vcc, s26, v1
	s_and_saveexec_b64 s[2:3], vcc
	s_cbranch_execz .LBB82_124
; %bb.123:
	s_waitcnt lgkmcnt(8)
	global_store_dwordx4 v[2:3], v[4:7], off offset:2048
.LBB82_124:
	s_or_b64 exec, exec, s[2:3]
	v_or_b32_e32 v1, 0x100, v0
	v_cmp_gt_u32_e32 vcc, s26, v1
	s_and_saveexec_b64 s[2:3], vcc
	s_cbranch_execz .LBB82_126
; %bb.125:
	v_add_co_u32_e32 v44, vcc, 0x1000, v2
	s_nop 1
	v_addc_co_u32_e32 v45, vcc, 0, v3, vcc
	s_waitcnt lgkmcnt(7)
	global_store_dwordx4 v[44:45], v[12:15], off
.LBB82_126:
	s_or_b64 exec, exec, s[2:3]
	v_or_b32_e32 v1, 0x180, v0
	v_cmp_gt_u32_e32 vcc, s26, v1
	s_and_saveexec_b64 s[2:3], vcc
	s_cbranch_execz .LBB82_128
; %bb.127:
	v_add_co_u32_e32 v44, vcc, 0x1000, v2
	s_nop 1
	v_addc_co_u32_e32 v45, vcc, 0, v3, vcc
	s_waitcnt lgkmcnt(6)
	global_store_dwordx4 v[44:45], v[16:19], off offset:2048
.LBB82_128:
	s_or_b64 exec, exec, s[2:3]
	v_or_b32_e32 v1, 0x200, v0
	v_cmp_gt_u32_e32 vcc, s26, v1
	s_and_saveexec_b64 s[2:3], vcc
	s_cbranch_execz .LBB82_130
; %bb.129:
	v_add_co_u32_e32 v44, vcc, 0x2000, v2
	s_nop 1
	v_addc_co_u32_e32 v45, vcc, 0, v3, vcc
	s_waitcnt lgkmcnt(5)
	global_store_dwordx4 v[44:45], v[24:27], off
.LBB82_130:
	s_or_b64 exec, exec, s[2:3]
	v_or_b32_e32 v1, 0x280, v0
	v_cmp_gt_u32_e32 vcc, s26, v1
	s_and_saveexec_b64 s[2:3], vcc
	s_cbranch_execz .LBB82_132
; %bb.131:
	v_add_co_u32_e32 v44, vcc, 0x2000, v2
	s_nop 1
	v_addc_co_u32_e32 v45, vcc, 0, v3, vcc
	s_waitcnt lgkmcnt(4)
	global_store_dwordx4 v[44:45], v[20:23], off offset:2048
.LBB82_132:
	;; [unrolled: 24-line block ×4, first 2 shown]
	s_or_b64 exec, exec, s[2:3]
	s_load_dword s0, s[0:1], 0x68
	s_waitcnt lgkmcnt(0)
	s_bfe_u32 s0, s0, 0x10008
	s_cmp_eq_u32 s0, 0
	s_cbranch_scc1 .LBB82_175
; %bb.141:
	s_add_u32 s0, s26, -1
	s_addc_u32 s1, s27, -1
	s_mul_i32 s5, s1, 0xcccccccd
	s_mul_hi_u32 s8, s0, 0xcccccccd
	s_mul_hi_u32 s4, s1, 0xcccccccd
	s_add_u32 s5, s5, s8
	s_mul_i32 s3, s0, 0xcccccccc
	s_addc_u32 s4, s4, 0
	s_mul_hi_u32 s2, s0, 0xcccccccc
	s_add_u32 s3, s3, s5
	s_addc_u32 s2, s2, 0
	s_add_u32 s2, s4, s2
	s_addc_u32 s3, 0, 0
	s_mul_i32 s5, s1, 0xcccccccc
	s_mul_hi_u32 s4, s1, 0xcccccccc
	s_add_u32 s2, s5, s2
	s_addc_u32 s3, s4, s3
	v_mov_b32_e32 v1, v87
	s_lshr_b64 s[2:3], s[2:3], 3
	v_cmp_eq_u64_e32 vcc, s[2:3], v[0:1]
	s_and_saveexec_b64 s[2:3], vcc
	s_cbranch_execz .LBB82_175
; %bb.142:
	v_mul_hi_u32_u24_e32 v1, 10, v0
	v_mul_u32_u24_e32 v0, 10, v0
	v_mov_b32_e32 v2, s1
	v_sub_co_u32_e32 v0, vcc, s0, v0
	s_nop 1
	v_subb_co_u32_e32 v1, vcc, v2, v1, vcc
	v_cmp_lt_i64_e32 vcc, 4, v[0:1]
	s_and_saveexec_b64 s[0:1], vcc
	s_xor_b64 s[0:1], exec, s[0:1]
	s_cbranch_execz .LBB82_160
; %bb.143:
	v_cmp_lt_i64_e32 vcc, 6, v[0:1]
	s_and_saveexec_b64 s[2:3], vcc
	s_xor_b64 s[2:3], exec, s[2:3]
	s_cbranch_execz .LBB82_153
; %bb.144:
	;; [unrolled: 5-line block ×4, first 2 shown]
	v_mov_b32_e32 v0, 0
	global_store_dwordx4 v0, v[40:43], s[6:7]
                                        ; implicit-def: $vgpr28_vgpr29_vgpr30_vgpr31
.LBB82_147:
	s_andn2_saveexec_b64 s[8:9], s[8:9]
	s_cbranch_execz .LBB82_149
; %bb.148:
	v_mov_b32_e32 v0, 0
	global_store_dwordx4 v0, v[28:31], s[6:7]
.LBB82_149:
	s_or_b64 exec, exec, s[8:9]
                                        ; implicit-def: $vgpr36_vgpr37_vgpr38_vgpr39
.LBB82_150:
	s_andn2_saveexec_b64 s[4:5], s[4:5]
	s_cbranch_execz .LBB82_152
; %bb.151:
	v_mov_b32_e32 v0, 0
	global_store_dwordx4 v0, v[36:39], s[6:7]
.LBB82_152:
	s_or_b64 exec, exec, s[4:5]
                                        ; implicit-def: $vgpr20_vgpr21_vgpr22_vgpr23
                                        ; implicit-def: $vgpr0_vgpr1
                                        ; implicit-def: $vgpr32_vgpr33_vgpr34_vgpr35
.LBB82_153:
	s_andn2_saveexec_b64 s[2:3], s[2:3]
	s_cbranch_execz .LBB82_159
; %bb.154:
	v_cmp_lt_i64_e32 vcc, 5, v[0:1]
	s_and_saveexec_b64 s[4:5], vcc
	s_xor_b64 s[4:5], exec, s[4:5]
	s_cbranch_execz .LBB82_156
; %bb.155:
	v_mov_b32_e32 v0, 0
	global_store_dwordx4 v0, v[32:35], s[6:7]
                                        ; implicit-def: $vgpr20_vgpr21_vgpr22_vgpr23
.LBB82_156:
	s_andn2_saveexec_b64 s[4:5], s[4:5]
	s_cbranch_execz .LBB82_158
; %bb.157:
	v_mov_b32_e32 v0, 0
	global_store_dwordx4 v0, v[20:23], s[6:7]
.LBB82_158:
	s_or_b64 exec, exec, s[4:5]
.LBB82_159:
	s_or_b64 exec, exec, s[2:3]
                                        ; implicit-def: $vgpr0_vgpr1
                                        ; implicit-def: $vgpr16_vgpr17_vgpr18_vgpr19
                                        ; implicit-def: $vgpr12_vgpr13_vgpr14_vgpr15
                                        ; implicit-def: $vgpr4_vgpr5_vgpr6_vgpr7
                                        ; implicit-def: $vgpr24_vgpr25_vgpr26_vgpr27
                                        ; implicit-def: $vgpr8_vgpr9_vgpr10_vgpr11
.LBB82_160:
	s_andn2_saveexec_b64 s[0:1], s[0:1]
	s_cbranch_execz .LBB82_175
; %bb.161:
	v_cmp_lt_i64_e32 vcc, 2, v[0:1]
	s_and_saveexec_b64 s[0:1], vcc
	s_xor_b64 s[0:1], exec, s[0:1]
	s_cbranch_execz .LBB82_167
; %bb.162:
	v_cmp_lt_i64_e32 vcc, 3, v[0:1]
	s_and_saveexec_b64 s[2:3], vcc
	s_xor_b64 s[2:3], exec, s[2:3]
	s_cbranch_execz .LBB82_164
; %bb.163:
	v_mov_b32_e32 v0, 0
	global_store_dwordx4 v0, v[24:27], s[6:7]
                                        ; implicit-def: $vgpr16_vgpr17_vgpr18_vgpr19
.LBB82_164:
	s_andn2_saveexec_b64 s[2:3], s[2:3]
	s_cbranch_execz .LBB82_166
; %bb.165:
	v_mov_b32_e32 v0, 0
	global_store_dwordx4 v0, v[16:19], s[6:7]
.LBB82_166:
	s_or_b64 exec, exec, s[2:3]
                                        ; implicit-def: $vgpr0_vgpr1
                                        ; implicit-def: $vgpr12_vgpr13_vgpr14_vgpr15
                                        ; implicit-def: $vgpr4_vgpr5_vgpr6_vgpr7
                                        ; implicit-def: $vgpr8_vgpr9_vgpr10_vgpr11
.LBB82_167:
	s_andn2_saveexec_b64 s[0:1], s[0:1]
	s_cbranch_execz .LBB82_175
; %bb.168:
	v_cmp_lt_i64_e32 vcc, 1, v[0:1]
	s_and_saveexec_b64 s[0:1], vcc
	s_xor_b64 s[0:1], exec, s[0:1]
	s_cbranch_execz .LBB82_170
; %bb.169:
	v_mov_b32_e32 v0, 0
	global_store_dwordx4 v0, v[12:15], s[6:7]
                                        ; implicit-def: $vgpr4_vgpr5_vgpr6_vgpr7
                                        ; implicit-def: $vgpr0_vgpr1
                                        ; implicit-def: $vgpr8_vgpr9_vgpr10_vgpr11
.LBB82_170:
	s_andn2_saveexec_b64 s[0:1], s[0:1]
	s_cbranch_execz .LBB82_175
; %bb.171:
	v_cmp_ne_u64_e32 vcc, 1, v[0:1]
	s_and_saveexec_b64 s[0:1], vcc
	s_xor_b64 s[0:1], exec, s[0:1]
	s_cbranch_execz .LBB82_173
; %bb.172:
	v_mov_b32_e32 v0, 0
	global_store_dwordx4 v0, v[8:11], s[6:7]
                                        ; implicit-def: $vgpr4_vgpr5_vgpr6_vgpr7
.LBB82_173:
	s_andn2_saveexec_b64 s[0:1], s[0:1]
	s_cbranch_execz .LBB82_175
; %bb.174:
	v_mov_b32_e32 v0, 0
	global_store_dwordx4 v0, v[4:7], s[6:7]
.LBB82_175:
	s_endpgm
	.section	.rodata,"a",@progbits
	.p2align	6, 0x0
	.amdhsa_kernel _ZN7rocprim17ROCPRIM_304000_NS6detail20lookback_scan_kernelILNS1_25lookback_scan_determinismE0ELb0ENS1_19wrapped_scan_configINS0_14default_configEN3c107complexIdEEEEPKS8_PS8_St4plusIS8_ES8_S8_NS1_19lookback_scan_stateIS8_Lb0ELb0EEEEEvT2_T3_mT5_T4_T7_jPT6_SN_bb
		.amdhsa_group_segment_fixed_size 20480
		.amdhsa_private_segment_fixed_size 0
		.amdhsa_kernarg_size 108
		.amdhsa_user_sgpr_count 2
		.amdhsa_user_sgpr_dispatch_ptr 0
		.amdhsa_user_sgpr_queue_ptr 0
		.amdhsa_user_sgpr_kernarg_segment_ptr 1
		.amdhsa_user_sgpr_dispatch_id 0
		.amdhsa_user_sgpr_kernarg_preload_length 0
		.amdhsa_user_sgpr_kernarg_preload_offset 0
		.amdhsa_user_sgpr_private_segment_size 0
		.amdhsa_uses_dynamic_stack 0
		.amdhsa_enable_private_segment 0
		.amdhsa_system_sgpr_workgroup_id_x 1
		.amdhsa_system_sgpr_workgroup_id_y 0
		.amdhsa_system_sgpr_workgroup_id_z 0
		.amdhsa_system_sgpr_workgroup_info 0
		.amdhsa_system_vgpr_workitem_id 0
		.amdhsa_next_free_vgpr 97
		.amdhsa_next_free_sgpr 96
		.amdhsa_accum_offset 96
		.amdhsa_reserve_vcc 1
		.amdhsa_float_round_mode_32 0
		.amdhsa_float_round_mode_16_64 0
		.amdhsa_float_denorm_mode_32 3
		.amdhsa_float_denorm_mode_16_64 3
		.amdhsa_dx10_clamp 1
		.amdhsa_ieee_mode 1
		.amdhsa_fp16_overflow 0
		.amdhsa_tg_split 0
		.amdhsa_exception_fp_ieee_invalid_op 0
		.amdhsa_exception_fp_denorm_src 0
		.amdhsa_exception_fp_ieee_div_zero 0
		.amdhsa_exception_fp_ieee_overflow 0
		.amdhsa_exception_fp_ieee_underflow 0
		.amdhsa_exception_fp_ieee_inexact 0
		.amdhsa_exception_int_div_zero 0
	.end_amdhsa_kernel
	.section	.text._ZN7rocprim17ROCPRIM_304000_NS6detail20lookback_scan_kernelILNS1_25lookback_scan_determinismE0ELb0ENS1_19wrapped_scan_configINS0_14default_configEN3c107complexIdEEEEPKS8_PS8_St4plusIS8_ES8_S8_NS1_19lookback_scan_stateIS8_Lb0ELb0EEEEEvT2_T3_mT5_T4_T7_jPT6_SN_bb,"axG",@progbits,_ZN7rocprim17ROCPRIM_304000_NS6detail20lookback_scan_kernelILNS1_25lookback_scan_determinismE0ELb0ENS1_19wrapped_scan_configINS0_14default_configEN3c107complexIdEEEEPKS8_PS8_St4plusIS8_ES8_S8_NS1_19lookback_scan_stateIS8_Lb0ELb0EEEEEvT2_T3_mT5_T4_T7_jPT6_SN_bb,comdat
.Lfunc_end82:
	.size	_ZN7rocprim17ROCPRIM_304000_NS6detail20lookback_scan_kernelILNS1_25lookback_scan_determinismE0ELb0ENS1_19wrapped_scan_configINS0_14default_configEN3c107complexIdEEEEPKS8_PS8_St4plusIS8_ES8_S8_NS1_19lookback_scan_stateIS8_Lb0ELb0EEEEEvT2_T3_mT5_T4_T7_jPT6_SN_bb, .Lfunc_end82-_ZN7rocprim17ROCPRIM_304000_NS6detail20lookback_scan_kernelILNS1_25lookback_scan_determinismE0ELb0ENS1_19wrapped_scan_configINS0_14default_configEN3c107complexIdEEEEPKS8_PS8_St4plusIS8_ES8_S8_NS1_19lookback_scan_stateIS8_Lb0ELb0EEEEEvT2_T3_mT5_T4_T7_jPT6_SN_bb
                                        ; -- End function
	.set _ZN7rocprim17ROCPRIM_304000_NS6detail20lookback_scan_kernelILNS1_25lookback_scan_determinismE0ELb0ENS1_19wrapped_scan_configINS0_14default_configEN3c107complexIdEEEEPKS8_PS8_St4plusIS8_ES8_S8_NS1_19lookback_scan_stateIS8_Lb0ELb0EEEEEvT2_T3_mT5_T4_T7_jPT6_SN_bb.num_vgpr, 95
	.set _ZN7rocprim17ROCPRIM_304000_NS6detail20lookback_scan_kernelILNS1_25lookback_scan_determinismE0ELb0ENS1_19wrapped_scan_configINS0_14default_configEN3c107complexIdEEEEPKS8_PS8_St4plusIS8_ES8_S8_NS1_19lookback_scan_stateIS8_Lb0ELb0EEEEEvT2_T3_mT5_T4_T7_jPT6_SN_bb.num_agpr, 0
	.set _ZN7rocprim17ROCPRIM_304000_NS6detail20lookback_scan_kernelILNS1_25lookback_scan_determinismE0ELb0ENS1_19wrapped_scan_configINS0_14default_configEN3c107complexIdEEEEPKS8_PS8_St4plusIS8_ES8_S8_NS1_19lookback_scan_stateIS8_Lb0ELb0EEEEEvT2_T3_mT5_T4_T7_jPT6_SN_bb.numbered_sgpr, 28
	.set _ZN7rocprim17ROCPRIM_304000_NS6detail20lookback_scan_kernelILNS1_25lookback_scan_determinismE0ELb0ENS1_19wrapped_scan_configINS0_14default_configEN3c107complexIdEEEEPKS8_PS8_St4plusIS8_ES8_S8_NS1_19lookback_scan_stateIS8_Lb0ELb0EEEEEvT2_T3_mT5_T4_T7_jPT6_SN_bb.num_named_barrier, 0
	.set _ZN7rocprim17ROCPRIM_304000_NS6detail20lookback_scan_kernelILNS1_25lookback_scan_determinismE0ELb0ENS1_19wrapped_scan_configINS0_14default_configEN3c107complexIdEEEEPKS8_PS8_St4plusIS8_ES8_S8_NS1_19lookback_scan_stateIS8_Lb0ELb0EEEEEvT2_T3_mT5_T4_T7_jPT6_SN_bb.private_seg_size, 0
	.set _ZN7rocprim17ROCPRIM_304000_NS6detail20lookback_scan_kernelILNS1_25lookback_scan_determinismE0ELb0ENS1_19wrapped_scan_configINS0_14default_configEN3c107complexIdEEEEPKS8_PS8_St4plusIS8_ES8_S8_NS1_19lookback_scan_stateIS8_Lb0ELb0EEEEEvT2_T3_mT5_T4_T7_jPT6_SN_bb.uses_vcc, 1
	.set _ZN7rocprim17ROCPRIM_304000_NS6detail20lookback_scan_kernelILNS1_25lookback_scan_determinismE0ELb0ENS1_19wrapped_scan_configINS0_14default_configEN3c107complexIdEEEEPKS8_PS8_St4plusIS8_ES8_S8_NS1_19lookback_scan_stateIS8_Lb0ELb0EEEEEvT2_T3_mT5_T4_T7_jPT6_SN_bb.uses_flat_scratch, 0
	.set _ZN7rocprim17ROCPRIM_304000_NS6detail20lookback_scan_kernelILNS1_25lookback_scan_determinismE0ELb0ENS1_19wrapped_scan_configINS0_14default_configEN3c107complexIdEEEEPKS8_PS8_St4plusIS8_ES8_S8_NS1_19lookback_scan_stateIS8_Lb0ELb0EEEEEvT2_T3_mT5_T4_T7_jPT6_SN_bb.has_dyn_sized_stack, 0
	.set _ZN7rocprim17ROCPRIM_304000_NS6detail20lookback_scan_kernelILNS1_25lookback_scan_determinismE0ELb0ENS1_19wrapped_scan_configINS0_14default_configEN3c107complexIdEEEEPKS8_PS8_St4plusIS8_ES8_S8_NS1_19lookback_scan_stateIS8_Lb0ELb0EEEEEvT2_T3_mT5_T4_T7_jPT6_SN_bb.has_recursion, 0
	.set _ZN7rocprim17ROCPRIM_304000_NS6detail20lookback_scan_kernelILNS1_25lookback_scan_determinismE0ELb0ENS1_19wrapped_scan_configINS0_14default_configEN3c107complexIdEEEEPKS8_PS8_St4plusIS8_ES8_S8_NS1_19lookback_scan_stateIS8_Lb0ELb0EEEEEvT2_T3_mT5_T4_T7_jPT6_SN_bb.has_indirect_call, 0
	.section	.AMDGPU.csdata,"",@progbits
; Kernel info:
; codeLenInByte = 7052
; TotalNumSgprs: 34
; NumVgprs: 95
; NumAgprs: 0
; TotalNumVgprs: 95
; ScratchSize: 0
; MemoryBound: 1
; FloatMode: 240
; IeeeMode: 1
; LDSByteSize: 20480 bytes/workgroup (compile time only)
; SGPRBlocks: 12
; VGPRBlocks: 12
; NumSGPRsForWavesPerEU: 102
; NumVGPRsForWavesPerEU: 97
; AccumOffset: 96
; Occupancy: 4
; WaveLimiterHint : 1
; COMPUTE_PGM_RSRC2:SCRATCH_EN: 0
; COMPUTE_PGM_RSRC2:USER_SGPR: 2
; COMPUTE_PGM_RSRC2:TRAP_HANDLER: 0
; COMPUTE_PGM_RSRC2:TGID_X_EN: 1
; COMPUTE_PGM_RSRC2:TGID_Y_EN: 0
; COMPUTE_PGM_RSRC2:TGID_Z_EN: 0
; COMPUTE_PGM_RSRC2:TIDIG_COMP_CNT: 0
; COMPUTE_PGM_RSRC3_GFX90A:ACCUM_OFFSET: 23
; COMPUTE_PGM_RSRC3_GFX90A:TG_SPLIT: 0
	.section	.text._ZN7rocprim17ROCPRIM_304000_NS6detail16transform_kernelINS1_24wrapped_transform_configINS0_14default_configEN3c107complexIdEEEES7_PS7_S9_NS0_8identityIS7_EEEEvT1_mT2_T3_,"axG",@progbits,_ZN7rocprim17ROCPRIM_304000_NS6detail16transform_kernelINS1_24wrapped_transform_configINS0_14default_configEN3c107complexIdEEEES7_PS7_S9_NS0_8identityIS7_EEEEvT1_mT2_T3_,comdat
	.protected	_ZN7rocprim17ROCPRIM_304000_NS6detail16transform_kernelINS1_24wrapped_transform_configINS0_14default_configEN3c107complexIdEEEES7_PS7_S9_NS0_8identityIS7_EEEEvT1_mT2_T3_ ; -- Begin function _ZN7rocprim17ROCPRIM_304000_NS6detail16transform_kernelINS1_24wrapped_transform_configINS0_14default_configEN3c107complexIdEEEES7_PS7_S9_NS0_8identityIS7_EEEEvT1_mT2_T3_
	.globl	_ZN7rocprim17ROCPRIM_304000_NS6detail16transform_kernelINS1_24wrapped_transform_configINS0_14default_configEN3c107complexIdEEEES7_PS7_S9_NS0_8identityIS7_EEEEvT1_mT2_T3_
	.p2align	8
	.type	_ZN7rocprim17ROCPRIM_304000_NS6detail16transform_kernelINS1_24wrapped_transform_configINS0_14default_configEN3c107complexIdEEEES7_PS7_S9_NS0_8identityIS7_EEEEvT1_mT2_T3_,@function
_ZN7rocprim17ROCPRIM_304000_NS6detail16transform_kernelINS1_24wrapped_transform_configINS0_14default_configEN3c107complexIdEEEES7_PS7_S9_NS0_8identityIS7_EEEEvT1_mT2_T3_: ; @_ZN7rocprim17ROCPRIM_304000_NS6detail16transform_kernelINS1_24wrapped_transform_configINS0_14default_configEN3c107complexIdEEEES7_PS7_S9_NS0_8identityIS7_EEEEvT1_mT2_T3_
; %bb.0:
	s_load_dword s3, s[0:1], 0x20
	s_load_dwordx4 s[4:7], s[0:1], 0x0
	s_lshl_b32 s8, s2, 7
	s_waitcnt lgkmcnt(0)
	s_add_i32 s3, s3, -1
	s_cmp_lg_u32 s2, s3
	s_cselect_b64 s[2:3], -1, 0
	s_sub_i32 s6, s6, s8
	v_cmp_gt_u32_e32 vcc, s6, v0
	s_or_b64 s[2:3], vcc, s[2:3]
	s_and_saveexec_b64 s[6:7], s[2:3]
	s_cbranch_execz .LBB83_2
; %bb.1:
	s_load_dwordx2 s[0:1], s[0:1], 0x10
	s_mov_b32 s9, 0
	s_lshl_b64 s[2:3], s[8:9], 4
	v_lshlrev_b32_e32 v4, 4, v0
	s_waitcnt lgkmcnt(0)
	s_add_u32 s0, s0, s2
	s_addc_u32 s1, s1, s3
	s_add_u32 s2, s4, s2
	s_addc_u32 s3, s5, s3
	global_load_dwordx4 v[0:3], v4, s[2:3]
	s_waitcnt vmcnt(0)
	global_store_dwordx4 v4, v[0:3], s[0:1]
.LBB83_2:
	s_endpgm
	.section	.rodata,"a",@progbits
	.p2align	6, 0x0
	.amdhsa_kernel _ZN7rocprim17ROCPRIM_304000_NS6detail16transform_kernelINS1_24wrapped_transform_configINS0_14default_configEN3c107complexIdEEEES7_PS7_S9_NS0_8identityIS7_EEEEvT1_mT2_T3_
		.amdhsa_group_segment_fixed_size 0
		.amdhsa_private_segment_fixed_size 0
		.amdhsa_kernarg_size 288
		.amdhsa_user_sgpr_count 2
		.amdhsa_user_sgpr_dispatch_ptr 0
		.amdhsa_user_sgpr_queue_ptr 0
		.amdhsa_user_sgpr_kernarg_segment_ptr 1
		.amdhsa_user_sgpr_dispatch_id 0
		.amdhsa_user_sgpr_kernarg_preload_length 0
		.amdhsa_user_sgpr_kernarg_preload_offset 0
		.amdhsa_user_sgpr_private_segment_size 0
		.amdhsa_uses_dynamic_stack 0
		.amdhsa_enable_private_segment 0
		.amdhsa_system_sgpr_workgroup_id_x 1
		.amdhsa_system_sgpr_workgroup_id_y 0
		.amdhsa_system_sgpr_workgroup_id_z 0
		.amdhsa_system_sgpr_workgroup_info 0
		.amdhsa_system_vgpr_workitem_id 0
		.amdhsa_next_free_vgpr 5
		.amdhsa_next_free_sgpr 10
		.amdhsa_accum_offset 8
		.amdhsa_reserve_vcc 1
		.amdhsa_float_round_mode_32 0
		.amdhsa_float_round_mode_16_64 0
		.amdhsa_float_denorm_mode_32 3
		.amdhsa_float_denorm_mode_16_64 3
		.amdhsa_dx10_clamp 1
		.amdhsa_ieee_mode 1
		.amdhsa_fp16_overflow 0
		.amdhsa_tg_split 0
		.amdhsa_exception_fp_ieee_invalid_op 0
		.amdhsa_exception_fp_denorm_src 0
		.amdhsa_exception_fp_ieee_div_zero 0
		.amdhsa_exception_fp_ieee_overflow 0
		.amdhsa_exception_fp_ieee_underflow 0
		.amdhsa_exception_fp_ieee_inexact 0
		.amdhsa_exception_int_div_zero 0
	.end_amdhsa_kernel
	.section	.text._ZN7rocprim17ROCPRIM_304000_NS6detail16transform_kernelINS1_24wrapped_transform_configINS0_14default_configEN3c107complexIdEEEES7_PS7_S9_NS0_8identityIS7_EEEEvT1_mT2_T3_,"axG",@progbits,_ZN7rocprim17ROCPRIM_304000_NS6detail16transform_kernelINS1_24wrapped_transform_configINS0_14default_configEN3c107complexIdEEEES7_PS7_S9_NS0_8identityIS7_EEEEvT1_mT2_T3_,comdat
.Lfunc_end83:
	.size	_ZN7rocprim17ROCPRIM_304000_NS6detail16transform_kernelINS1_24wrapped_transform_configINS0_14default_configEN3c107complexIdEEEES7_PS7_S9_NS0_8identityIS7_EEEEvT1_mT2_T3_, .Lfunc_end83-_ZN7rocprim17ROCPRIM_304000_NS6detail16transform_kernelINS1_24wrapped_transform_configINS0_14default_configEN3c107complexIdEEEES7_PS7_S9_NS0_8identityIS7_EEEEvT1_mT2_T3_
                                        ; -- End function
	.set _ZN7rocprim17ROCPRIM_304000_NS6detail16transform_kernelINS1_24wrapped_transform_configINS0_14default_configEN3c107complexIdEEEES7_PS7_S9_NS0_8identityIS7_EEEEvT1_mT2_T3_.num_vgpr, 5
	.set _ZN7rocprim17ROCPRIM_304000_NS6detail16transform_kernelINS1_24wrapped_transform_configINS0_14default_configEN3c107complexIdEEEES7_PS7_S9_NS0_8identityIS7_EEEEvT1_mT2_T3_.num_agpr, 0
	.set _ZN7rocprim17ROCPRIM_304000_NS6detail16transform_kernelINS1_24wrapped_transform_configINS0_14default_configEN3c107complexIdEEEES7_PS7_S9_NS0_8identityIS7_EEEEvT1_mT2_T3_.numbered_sgpr, 10
	.set _ZN7rocprim17ROCPRIM_304000_NS6detail16transform_kernelINS1_24wrapped_transform_configINS0_14default_configEN3c107complexIdEEEES7_PS7_S9_NS0_8identityIS7_EEEEvT1_mT2_T3_.num_named_barrier, 0
	.set _ZN7rocprim17ROCPRIM_304000_NS6detail16transform_kernelINS1_24wrapped_transform_configINS0_14default_configEN3c107complexIdEEEES7_PS7_S9_NS0_8identityIS7_EEEEvT1_mT2_T3_.private_seg_size, 0
	.set _ZN7rocprim17ROCPRIM_304000_NS6detail16transform_kernelINS1_24wrapped_transform_configINS0_14default_configEN3c107complexIdEEEES7_PS7_S9_NS0_8identityIS7_EEEEvT1_mT2_T3_.uses_vcc, 1
	.set _ZN7rocprim17ROCPRIM_304000_NS6detail16transform_kernelINS1_24wrapped_transform_configINS0_14default_configEN3c107complexIdEEEES7_PS7_S9_NS0_8identityIS7_EEEEvT1_mT2_T3_.uses_flat_scratch, 0
	.set _ZN7rocprim17ROCPRIM_304000_NS6detail16transform_kernelINS1_24wrapped_transform_configINS0_14default_configEN3c107complexIdEEEES7_PS7_S9_NS0_8identityIS7_EEEEvT1_mT2_T3_.has_dyn_sized_stack, 0
	.set _ZN7rocprim17ROCPRIM_304000_NS6detail16transform_kernelINS1_24wrapped_transform_configINS0_14default_configEN3c107complexIdEEEES7_PS7_S9_NS0_8identityIS7_EEEEvT1_mT2_T3_.has_recursion, 0
	.set _ZN7rocprim17ROCPRIM_304000_NS6detail16transform_kernelINS1_24wrapped_transform_configINS0_14default_configEN3c107complexIdEEEES7_PS7_S9_NS0_8identityIS7_EEEEvT1_mT2_T3_.has_indirect_call, 0
	.section	.AMDGPU.csdata,"",@progbits
; Kernel info:
; codeLenInByte = 120
; TotalNumSgprs: 16
; NumVgprs: 5
; NumAgprs: 0
; TotalNumVgprs: 5
; ScratchSize: 0
; MemoryBound: 0
; FloatMode: 240
; IeeeMode: 1
; LDSByteSize: 0 bytes/workgroup (compile time only)
; SGPRBlocks: 1
; VGPRBlocks: 0
; NumSGPRsForWavesPerEU: 16
; NumVGPRsForWavesPerEU: 5
; AccumOffset: 8
; Occupancy: 8
; WaveLimiterHint : 0
; COMPUTE_PGM_RSRC2:SCRATCH_EN: 0
; COMPUTE_PGM_RSRC2:USER_SGPR: 2
; COMPUTE_PGM_RSRC2:TRAP_HANDLER: 0
; COMPUTE_PGM_RSRC2:TGID_X_EN: 1
; COMPUTE_PGM_RSRC2:TGID_Y_EN: 0
; COMPUTE_PGM_RSRC2:TGID_Z_EN: 0
; COMPUTE_PGM_RSRC2:TIDIG_COMP_CNT: 0
; COMPUTE_PGM_RSRC3_GFX90A:ACCUM_OFFSET: 1
; COMPUTE_PGM_RSRC3_GFX90A:TG_SPLIT: 0
	.section	.text._ZN7rocprim17ROCPRIM_304000_NS6detail18single_scan_kernelILb0ENS1_19wrapped_scan_configINS0_14default_configEN3c107complexIdEEEEPKS7_PS7_St4plusIS7_ES7_S7_EEvT1_mT4_T2_T3_,"axG",@progbits,_ZN7rocprim17ROCPRIM_304000_NS6detail18single_scan_kernelILb0ENS1_19wrapped_scan_configINS0_14default_configEN3c107complexIdEEEEPKS7_PS7_St4plusIS7_ES7_S7_EEvT1_mT4_T2_T3_,comdat
	.protected	_ZN7rocprim17ROCPRIM_304000_NS6detail18single_scan_kernelILb0ENS1_19wrapped_scan_configINS0_14default_configEN3c107complexIdEEEEPKS7_PS7_St4plusIS7_ES7_S7_EEvT1_mT4_T2_T3_ ; -- Begin function _ZN7rocprim17ROCPRIM_304000_NS6detail18single_scan_kernelILb0ENS1_19wrapped_scan_configINS0_14default_configEN3c107complexIdEEEEPKS7_PS7_St4plusIS7_ES7_S7_EEvT1_mT4_T2_T3_
	.globl	_ZN7rocprim17ROCPRIM_304000_NS6detail18single_scan_kernelILb0ENS1_19wrapped_scan_configINS0_14default_configEN3c107complexIdEEEEPKS7_PS7_St4plusIS7_ES7_S7_EEvT1_mT4_T2_T3_
	.p2align	8
	.type	_ZN7rocprim17ROCPRIM_304000_NS6detail18single_scan_kernelILb0ENS1_19wrapped_scan_configINS0_14default_configEN3c107complexIdEEEEPKS7_PS7_St4plusIS7_ES7_S7_EEvT1_mT4_T2_T3_,@function
_ZN7rocprim17ROCPRIM_304000_NS6detail18single_scan_kernelILb0ENS1_19wrapped_scan_configINS0_14default_configEN3c107complexIdEEEEPKS7_PS7_St4plusIS7_ES7_S7_EEvT1_mT4_T2_T3_: ; @_ZN7rocprim17ROCPRIM_304000_NS6detail18single_scan_kernelILb0ENS1_19wrapped_scan_configINS0_14default_configEN3c107complexIdEEEEPKS7_PS7_St4plusIS7_ES7_S7_EEvT1_mT4_T2_T3_
; %bb.0:
	s_load_dwordx4 s[20:23], s[0:1], 0x0
	v_mov_b32_e32 v87, 0
	v_lshlrev_b32_e32 v86, 4, v0
	s_waitcnt lgkmcnt(0)
	s_load_dwordx4 s[24:27], s[20:21], 0x0
	v_lshl_add_u64 v[2:3], s[20:21], 0, v[86:87]
	v_cmp_gt_u32_e64 s[8:9], s22, v0
	s_waitcnt lgkmcnt(0)
	v_mov_b64_e32 v[6:7], s[26:27]
	v_mov_b64_e32 v[4:5], s[24:25]
	s_and_saveexec_b64 s[2:3], s[8:9]
	s_cbranch_execz .LBB84_2
; %bb.1:
	global_load_dwordx4 v[4:7], v[2:3], off
.LBB84_2:
	s_or_b64 exec, exec, s[2:3]
	v_or_b32_e32 v1, 0x80, v0
	v_cmp_gt_u32_e64 s[2:3], s22, v1
	v_mov_b64_e32 v[10:11], s[26:27]
	v_mov_b64_e32 v[8:9], s[24:25]
	s_and_saveexec_b64 s[4:5], s[2:3]
	s_cbranch_execz .LBB84_4
; %bb.3:
	global_load_dwordx4 v[8:11], v[2:3], off offset:2048
.LBB84_4:
	s_or_b64 exec, exec, s[4:5]
	v_or_b32_e32 v1, 0x100, v0
	v_cmp_gt_u32_e64 s[4:5], s22, v1
	v_mov_b64_e32 v[14:15], s[26:27]
	v_mov_b64_e32 v[12:13], s[24:25]
	s_and_saveexec_b64 s[6:7], s[4:5]
	s_cbranch_execz .LBB84_6
; %bb.5:
	v_add_co_u32_e32 v12, vcc, 0x1000, v2
	s_nop 1
	v_addc_co_u32_e32 v13, vcc, 0, v3, vcc
	global_load_dwordx4 v[12:15], v[12:13], off
.LBB84_6:
	s_or_b64 exec, exec, s[6:7]
	v_or_b32_e32 v1, 0x180, v0
	v_cmp_gt_u32_e64 s[6:7], s22, v1
	v_mov_b64_e32 v[18:19], s[26:27]
	v_mov_b64_e32 v[16:17], s[24:25]
	s_and_saveexec_b64 s[10:11], s[6:7]
	s_cbranch_execz .LBB84_8
; %bb.7:
	v_add_co_u32_e32 v16, vcc, 0x1000, v2
	s_nop 1
	v_addc_co_u32_e32 v17, vcc, 0, v3, vcc
	global_load_dwordx4 v[16:19], v[16:17], off offset:2048
.LBB84_8:
	s_or_b64 exec, exec, s[10:11]
	v_or_b32_e32 v1, 0x200, v0
	v_cmp_gt_u32_e64 s[10:11], s22, v1
	v_mov_b64_e32 v[22:23], s[26:27]
	v_mov_b64_e32 v[20:21], s[24:25]
	s_and_saveexec_b64 s[12:13], s[10:11]
	s_cbranch_execz .LBB84_10
; %bb.9:
	v_add_co_u32_e32 v20, vcc, 0x2000, v2
	s_nop 1
	v_addc_co_u32_e32 v21, vcc, 0, v3, vcc
	global_load_dwordx4 v[20:23], v[20:21], off
.LBB84_10:
	s_or_b64 exec, exec, s[12:13]
	v_or_b32_e32 v1, 0x280, v0
	v_cmp_gt_u32_e64 s[12:13], s22, v1
	v_mov_b64_e32 v[26:27], s[26:27]
	v_mov_b64_e32 v[24:25], s[24:25]
	s_and_saveexec_b64 s[14:15], s[12:13]
	s_cbranch_execz .LBB84_12
; %bb.11:
	v_add_co_u32_e32 v24, vcc, 0x2000, v2
	s_nop 1
	v_addc_co_u32_e32 v25, vcc, 0, v3, vcc
	global_load_dwordx4 v[24:27], v[24:25], off offset:2048
.LBB84_12:
	;; [unrolled: 26-line block ×4, first 2 shown]
	s_or_b64 exec, exec, s[22:23]
	s_movk_i32 s22, 0x90
	v_mad_u32_u24 v1, v0, s22, v86
	s_waitcnt vmcnt(0)
	ds_write_b128 v86, v[4:7]
	ds_write_b128 v86, v[8:11] offset:2048
	ds_write_b128 v86, v[12:15] offset:4096
	;; [unrolled: 1-line block ×9, first 2 shown]
	s_waitcnt lgkmcnt(0)
	s_barrier
	ds_read_b128 v[2:5], v1
	ds_read_b128 v[50:53], v1 offset:16
	ds_read_b128 v[46:49], v1 offset:32
	;; [unrolled: 1-line block ×9, first 2 shown]
	s_waitcnt lgkmcnt(8)
	v_add_f64 v[38:39], v[2:3], v[50:51]
	v_add_f64 v[40:41], v[4:5], v[52:53]
	s_waitcnt lgkmcnt(7)
	v_add_f64 v[34:35], v[38:39], v[46:47]
	v_add_f64 v[36:37], v[40:41], v[48:49]
	;; [unrolled: 3-line block ×7, first 2 shown]
	v_mbcnt_lo_u32_b32 v1, -1, 0
	s_waitcnt lgkmcnt(1)
	v_add_f64 v[10:11], v[14:15], v[70:71]
	v_add_f64 v[12:13], v[16:17], v[72:73]
	v_mbcnt_hi_u32_b32 v1, -1, v1
	s_waitcnt lgkmcnt(0)
	v_add_f64 v[6:7], v[10:11], v[74:75]
	v_add_f64 v[8:9], v[12:13], v[76:77]
	v_and_b32_e32 v87, 15, v1
	v_mov_b32_dpp v88, v6 row_shr:1 row_mask:0xf bank_mask:0xf
	v_mov_b32_dpp v89, v7 row_shr:1 row_mask:0xf bank_mask:0xf
	;; [unrolled: 1-line block ×4, first 2 shown]
	v_cmp_ne_u32_e32 vcc, 0, v87
	v_mov_b64_e32 v[78:79], v[6:7]
	v_mov_b64_e32 v[80:81], v[8:9]
	v_mov_b32_e32 v83, v9
	v_mov_b32_e32 v82, v8
	;; [unrolled: 1-line block ×4, first 2 shown]
	s_barrier
	s_and_saveexec_b64 s[22:23], vcc
; %bb.21:
	v_add_f64 v[80:81], v[8:9], v[90:91]
	v_add_f64 v[78:79], v[6:7], v[88:89]
	v_mov_b32_e32 v83, v81
	v_mov_b32_e32 v82, v80
	;; [unrolled: 1-line block ×4, first 2 shown]
; %bb.22:
	s_or_b64 exec, exec, s[22:23]
	s_nop 0
	v_mov_b32_dpp v88, v84 row_shr:2 row_mask:0xf bank_mask:0xf
	v_mov_b32_dpp v89, v85 row_shr:2 row_mask:0xf bank_mask:0xf
	v_mov_b32_dpp v90, v82 row_shr:2 row_mask:0xf bank_mask:0xf
	v_mov_b32_dpp v91, v83 row_shr:2 row_mask:0xf bank_mask:0xf
	v_cmp_lt_u32_e32 vcc, 1, v87
	s_and_saveexec_b64 s[22:23], vcc
; %bb.23:
	v_add_f64 v[82:83], v[80:81], v[90:91]
	v_add_f64 v[84:85], v[78:79], v[88:89]
	v_mov_b64_e32 v[78:79], v[84:85]
	v_mov_b64_e32 v[80:81], v[82:83]
; %bb.24:
	s_or_b64 exec, exec, s[22:23]
	v_mov_b32_dpp v88, v84 row_shr:4 row_mask:0xf bank_mask:0xf
	v_mov_b32_dpp v89, v85 row_shr:4 row_mask:0xf bank_mask:0xf
	v_mov_b32_dpp v90, v82 row_shr:4 row_mask:0xf bank_mask:0xf
	v_mov_b32_dpp v91, v83 row_shr:4 row_mask:0xf bank_mask:0xf
	v_cmp_lt_u32_e32 vcc, 3, v87
	s_and_saveexec_b64 s[22:23], vcc
; %bb.25:
	v_add_f64 v[82:83], v[80:81], v[90:91]
	v_add_f64 v[84:85], v[78:79], v[88:89]
	v_mov_b64_e32 v[78:79], v[84:85]
	v_mov_b64_e32 v[80:81], v[82:83]
; %bb.26:
	s_or_b64 exec, exec, s[22:23]
	;; [unrolled: 13-line block ×3, first 2 shown]
	v_and_b32_e32 v87, 16, v1
	v_mov_b32_dpp v88, v84 row_bcast:15 row_mask:0xf bank_mask:0xf
	v_mov_b32_dpp v89, v85 row_bcast:15 row_mask:0xf bank_mask:0xf
	;; [unrolled: 1-line block ×4, first 2 shown]
	v_cmp_ne_u32_e32 vcc, 0, v87
	s_and_saveexec_b64 s[22:23], vcc
; %bb.29:
	v_add_f64 v[80:81], v[80:81], v[90:91]
	v_add_f64 v[78:79], v[78:79], v[88:89]
	v_mov_b32_e32 v83, v81
	v_mov_b32_e32 v82, v80
	;; [unrolled: 1-line block ×4, first 2 shown]
; %bb.30:
	s_or_b64 exec, exec, s[22:23]
	s_nop 0
	v_mov_b32_dpp v84, v84 row_bcast:31 row_mask:0xf bank_mask:0xf
	v_mov_b32_dpp v85, v85 row_bcast:31 row_mask:0xf bank_mask:0xf
	;; [unrolled: 1-line block ×4, first 2 shown]
	v_cmp_lt_u32_e32 vcc, 31, v1
	s_and_saveexec_b64 s[22:23], vcc
; %bb.31:
	v_add_f64 v[80:81], v[80:81], v[82:83]
	v_add_f64 v[78:79], v[78:79], v[84:85]
; %bb.32:
	s_or_b64 exec, exec, s[22:23]
	v_or_b32_e32 v82, 63, v0
	v_lshrrev_b32_e32 v92, 6, v0
	v_cmp_eq_u32_e32 vcc, v0, v82
	s_and_saveexec_b64 s[22:23], vcc
; %bb.33:
	v_lshlrev_b32_e32 v82, 4, v92
	ds_write_b128 v82, v[78:81]
; %bb.34:
	s_or_b64 exec, exec, s[22:23]
	v_cmp_gt_u32_e32 vcc, 2, v0
	s_waitcnt lgkmcnt(0)
	s_barrier
	s_and_saveexec_b64 s[22:23], vcc
	s_cbranch_execz .LBB84_38
; %bb.35:
	ds_read_b128 v[82:85], v86
	v_and_b32_e32 v87, 1, v1
	v_cmp_eq_u32_e32 vcc, 1, v87
	s_waitcnt lgkmcnt(0)
	v_mov_b32_dpp v88, v82 row_shr:1 row_mask:0xf bank_mask:0xf
	v_mov_b32_dpp v89, v83 row_shr:1 row_mask:0xf bank_mask:0xf
	;; [unrolled: 1-line block ×4, first 2 shown]
	s_and_saveexec_b64 s[24:25], vcc
; %bb.36:
	v_add_f64 v[84:85], v[84:85], v[90:91]
	v_add_f64 v[82:83], v[82:83], v[88:89]
; %bb.37:
	s_or_b64 exec, exec, s[24:25]
	ds_write_b128 v86, v[82:85]
.LBB84_38:
	s_or_b64 exec, exec, s[22:23]
	v_mul_u32_u24_e32 v87, 0x90, v0
	v_cmp_lt_u32_e32 vcc, 63, v0
	v_mov_b64_e32 v[84:85], 0
	v_mov_b64_e32 v[82:83], 0
	s_waitcnt lgkmcnt(0)
	s_barrier
	s_and_saveexec_b64 s[22:23], vcc
	s_cbranch_execz .LBB84_40
; %bb.39:
	v_lshl_add_u32 v82, v92, 4, -16
	ds_read_b128 v[82:85], v82
	s_waitcnt lgkmcnt(0)
	v_add_f64 v[78:79], v[78:79], v[82:83]
	v_add_f64 v[80:81], v[80:81], v[84:85]
.LBB84_40:
	s_or_b64 exec, exec, s[22:23]
	v_add_u32_e32 v88, -1, v1
	v_and_b32_e32 v89, 64, v1
	v_cmp_lt_i32_e32 vcc, v88, v89
	s_nop 1
	v_cndmask_b32_e32 v88, v88, v1, vcc
	v_lshlrev_b32_e32 v88, 2, v88
	ds_bpermute_b32 v78, v88, v78
	ds_bpermute_b32 v79, v88, v79
	;; [unrolled: 1-line block ×4, first 2 shown]
	v_cmp_ne_u32_e32 vcc, 0, v0
	s_and_saveexec_b64 s[22:23], vcc
	s_cbranch_execz .LBB84_42
; %bb.41:
	v_cmp_eq_u32_e32 vcc, 0, v1
	s_waitcnt lgkmcnt(0)
	s_nop 0
	v_cndmask_b32_e32 v1, v81, v85, vcc
	v_cndmask_b32_e32 v0, v80, v84, vcc
	;; [unrolled: 1-line block ×4, first 2 shown]
	v_add_f64 v[2:3], v[2:3], v[6:7]
	v_add_f64 v[4:5], v[4:5], v[0:1]
	;; [unrolled: 1-line block ×20, first 2 shown]
.LBB84_42:
	s_or_b64 exec, exec, s[22:23]
	v_add_u32_e32 v0, v86, v87
	s_waitcnt lgkmcnt(0)
	s_barrier
	ds_write_b128 v0, v[2:5]
	ds_write_b128 v0, v[38:41] offset:16
	ds_write_b128 v0, v[34:37] offset:32
	;; [unrolled: 1-line block ×9, first 2 shown]
	s_waitcnt lgkmcnt(0)
	s_barrier
	ds_read_b128 v[32:35], v86 offset:2048
	ds_read_b128 v[28:31], v86 offset:4096
	;; [unrolled: 1-line block ×9, first 2 shown]
	s_load_dwordx2 s[0:1], s[0:1], 0x20
	v_mov_b32_e32 v87, 0
	s_waitcnt lgkmcnt(0)
	v_lshl_add_u64 v[36:37], s[0:1], 0, v[86:87]
	s_and_saveexec_b64 s[0:1], s[8:9]
	s_cbranch_execnz .LBB84_53
; %bb.43:
	s_or_b64 exec, exec, s[0:1]
	s_and_saveexec_b64 s[0:1], s[2:3]
	s_cbranch_execnz .LBB84_54
.LBB84_44:
	s_or_b64 exec, exec, s[0:1]
	s_and_saveexec_b64 s[0:1], s[4:5]
	s_cbranch_execnz .LBB84_55
.LBB84_45:
	s_or_b64 exec, exec, s[0:1]
	s_and_saveexec_b64 s[0:1], s[6:7]
	s_cbranch_execnz .LBB84_56
.LBB84_46:
	s_or_b64 exec, exec, s[0:1]
	s_and_saveexec_b64 s[0:1], s[10:11]
	s_cbranch_execnz .LBB84_57
.LBB84_47:
	s_or_b64 exec, exec, s[0:1]
	s_and_saveexec_b64 s[0:1], s[12:13]
	s_cbranch_execnz .LBB84_58
.LBB84_48:
	s_or_b64 exec, exec, s[0:1]
	s_and_saveexec_b64 s[0:1], s[14:15]
	s_cbranch_execnz .LBB84_59
.LBB84_49:
	s_or_b64 exec, exec, s[0:1]
	s_and_saveexec_b64 s[0:1], s[16:17]
	s_cbranch_execnz .LBB84_60
.LBB84_50:
	s_or_b64 exec, exec, s[0:1]
	s_and_saveexec_b64 s[0:1], s[18:19]
	s_cbranch_execnz .LBB84_61
.LBB84_51:
	s_or_b64 exec, exec, s[0:1]
	s_and_saveexec_b64 s[0:1], s[20:21]
	s_cbranch_execnz .LBB84_62
.LBB84_52:
	s_endpgm
.LBB84_53:
	ds_read_b128 v[38:41], v86
	s_waitcnt lgkmcnt(0)
	global_store_dwordx4 v[36:37], v[38:41], off
	s_or_b64 exec, exec, s[0:1]
	s_and_saveexec_b64 s[0:1], s[2:3]
	s_cbranch_execz .LBB84_44
.LBB84_54:
	global_store_dwordx4 v[36:37], v[32:35], off offset:2048
	s_or_b64 exec, exec, s[0:1]
	s_and_saveexec_b64 s[0:1], s[4:5]
	s_cbranch_execz .LBB84_45
.LBB84_55:
	v_add_co_u32_e32 v32, vcc, 0x1000, v36
	s_nop 1
	v_addc_co_u32_e32 v33, vcc, 0, v37, vcc
	global_store_dwordx4 v[32:33], v[28:31], off
	s_or_b64 exec, exec, s[0:1]
	s_and_saveexec_b64 s[0:1], s[6:7]
	s_cbranch_execz .LBB84_46
.LBB84_56:
	v_add_co_u32_e32 v28, vcc, 0x1000, v36
	s_nop 1
	v_addc_co_u32_e32 v29, vcc, 0, v37, vcc
	global_store_dwordx4 v[28:29], v[24:27], off offset:2048
	s_or_b64 exec, exec, s[0:1]
	s_and_saveexec_b64 s[0:1], s[10:11]
	s_cbranch_execz .LBB84_47
.LBB84_57:
	v_add_co_u32_e32 v24, vcc, 0x2000, v36
	s_nop 1
	v_addc_co_u32_e32 v25, vcc, 0, v37, vcc
	global_store_dwordx4 v[24:25], v[20:23], off
	s_or_b64 exec, exec, s[0:1]
	s_and_saveexec_b64 s[0:1], s[12:13]
	s_cbranch_execz .LBB84_48
.LBB84_58:
	v_add_co_u32_e32 v20, vcc, 0x2000, v36
	s_nop 1
	v_addc_co_u32_e32 v21, vcc, 0, v37, vcc
	global_store_dwordx4 v[20:21], v[16:19], off offset:2048
	s_or_b64 exec, exec, s[0:1]
	s_and_saveexec_b64 s[0:1], s[14:15]
	s_cbranch_execz .LBB84_49
.LBB84_59:
	v_add_co_u32_e32 v16, vcc, 0x3000, v36
	s_nop 1
	v_addc_co_u32_e32 v17, vcc, 0, v37, vcc
	global_store_dwordx4 v[16:17], v[12:15], off
	s_or_b64 exec, exec, s[0:1]
	s_and_saveexec_b64 s[0:1], s[16:17]
	s_cbranch_execz .LBB84_50
.LBB84_60:
	v_add_co_u32_e32 v12, vcc, 0x3000, v36
	s_nop 1
	v_addc_co_u32_e32 v13, vcc, 0, v37, vcc
	global_store_dwordx4 v[12:13], v[8:11], off offset:2048
	s_or_b64 exec, exec, s[0:1]
	s_and_saveexec_b64 s[0:1], s[18:19]
	s_cbranch_execz .LBB84_51
.LBB84_61:
	v_add_co_u32_e32 v8, vcc, 0x4000, v36
	s_nop 1
	v_addc_co_u32_e32 v9, vcc, 0, v37, vcc
	global_store_dwordx4 v[8:9], v[4:7], off
	s_or_b64 exec, exec, s[0:1]
	s_and_saveexec_b64 s[0:1], s[20:21]
	s_cbranch_execz .LBB84_52
.LBB84_62:
	v_add_co_u32_e32 v4, vcc, 0x4000, v36
	s_nop 1
	v_addc_co_u32_e32 v5, vcc, 0, v37, vcc
	global_store_dwordx4 v[4:5], v[0:3], off offset:2048
	s_endpgm
	.section	.rodata,"a",@progbits
	.p2align	6, 0x0
	.amdhsa_kernel _ZN7rocprim17ROCPRIM_304000_NS6detail18single_scan_kernelILb0ENS1_19wrapped_scan_configINS0_14default_configEN3c107complexIdEEEEPKS7_PS7_St4plusIS7_ES7_S7_EEvT1_mT4_T2_T3_
		.amdhsa_group_segment_fixed_size 20480
		.amdhsa_private_segment_fixed_size 0
		.amdhsa_kernarg_size 44
		.amdhsa_user_sgpr_count 2
		.amdhsa_user_sgpr_dispatch_ptr 0
		.amdhsa_user_sgpr_queue_ptr 0
		.amdhsa_user_sgpr_kernarg_segment_ptr 1
		.amdhsa_user_sgpr_dispatch_id 0
		.amdhsa_user_sgpr_kernarg_preload_length 0
		.amdhsa_user_sgpr_kernarg_preload_offset 0
		.amdhsa_user_sgpr_private_segment_size 0
		.amdhsa_uses_dynamic_stack 0
		.amdhsa_enable_private_segment 0
		.amdhsa_system_sgpr_workgroup_id_x 1
		.amdhsa_system_sgpr_workgroup_id_y 0
		.amdhsa_system_sgpr_workgroup_id_z 0
		.amdhsa_system_sgpr_workgroup_info 0
		.amdhsa_system_vgpr_workitem_id 0
		.amdhsa_next_free_vgpr 97
		.amdhsa_next_free_sgpr 96
		.amdhsa_accum_offset 96
		.amdhsa_reserve_vcc 1
		.amdhsa_float_round_mode_32 0
		.amdhsa_float_round_mode_16_64 0
		.amdhsa_float_denorm_mode_32 3
		.amdhsa_float_denorm_mode_16_64 3
		.amdhsa_dx10_clamp 1
		.amdhsa_ieee_mode 1
		.amdhsa_fp16_overflow 0
		.amdhsa_tg_split 0
		.amdhsa_exception_fp_ieee_invalid_op 0
		.amdhsa_exception_fp_denorm_src 0
		.amdhsa_exception_fp_ieee_div_zero 0
		.amdhsa_exception_fp_ieee_overflow 0
		.amdhsa_exception_fp_ieee_underflow 0
		.amdhsa_exception_fp_ieee_inexact 0
		.amdhsa_exception_int_div_zero 0
	.end_amdhsa_kernel
	.section	.text._ZN7rocprim17ROCPRIM_304000_NS6detail18single_scan_kernelILb0ENS1_19wrapped_scan_configINS0_14default_configEN3c107complexIdEEEEPKS7_PS7_St4plusIS7_ES7_S7_EEvT1_mT4_T2_T3_,"axG",@progbits,_ZN7rocprim17ROCPRIM_304000_NS6detail18single_scan_kernelILb0ENS1_19wrapped_scan_configINS0_14default_configEN3c107complexIdEEEEPKS7_PS7_St4plusIS7_ES7_S7_EEvT1_mT4_T2_T3_,comdat
.Lfunc_end84:
	.size	_ZN7rocprim17ROCPRIM_304000_NS6detail18single_scan_kernelILb0ENS1_19wrapped_scan_configINS0_14default_configEN3c107complexIdEEEEPKS7_PS7_St4plusIS7_ES7_S7_EEvT1_mT4_T2_T3_, .Lfunc_end84-_ZN7rocprim17ROCPRIM_304000_NS6detail18single_scan_kernelILb0ENS1_19wrapped_scan_configINS0_14default_configEN3c107complexIdEEEEPKS7_PS7_St4plusIS7_ES7_S7_EEvT1_mT4_T2_T3_
                                        ; -- End function
	.set _ZN7rocprim17ROCPRIM_304000_NS6detail18single_scan_kernelILb0ENS1_19wrapped_scan_configINS0_14default_configEN3c107complexIdEEEEPKS7_PS7_St4plusIS7_ES7_S7_EEvT1_mT4_T2_T3_.num_vgpr, 93
	.set _ZN7rocprim17ROCPRIM_304000_NS6detail18single_scan_kernelILb0ENS1_19wrapped_scan_configINS0_14default_configEN3c107complexIdEEEEPKS7_PS7_St4plusIS7_ES7_S7_EEvT1_mT4_T2_T3_.num_agpr, 0
	.set _ZN7rocprim17ROCPRIM_304000_NS6detail18single_scan_kernelILb0ENS1_19wrapped_scan_configINS0_14default_configEN3c107complexIdEEEEPKS7_PS7_St4plusIS7_ES7_S7_EEvT1_mT4_T2_T3_.numbered_sgpr, 28
	.set _ZN7rocprim17ROCPRIM_304000_NS6detail18single_scan_kernelILb0ENS1_19wrapped_scan_configINS0_14default_configEN3c107complexIdEEEEPKS7_PS7_St4plusIS7_ES7_S7_EEvT1_mT4_T2_T3_.num_named_barrier, 0
	.set _ZN7rocprim17ROCPRIM_304000_NS6detail18single_scan_kernelILb0ENS1_19wrapped_scan_configINS0_14default_configEN3c107complexIdEEEEPKS7_PS7_St4plusIS7_ES7_S7_EEvT1_mT4_T2_T3_.private_seg_size, 0
	.set _ZN7rocprim17ROCPRIM_304000_NS6detail18single_scan_kernelILb0ENS1_19wrapped_scan_configINS0_14default_configEN3c107complexIdEEEEPKS7_PS7_St4plusIS7_ES7_S7_EEvT1_mT4_T2_T3_.uses_vcc, 1
	.set _ZN7rocprim17ROCPRIM_304000_NS6detail18single_scan_kernelILb0ENS1_19wrapped_scan_configINS0_14default_configEN3c107complexIdEEEEPKS7_PS7_St4plusIS7_ES7_S7_EEvT1_mT4_T2_T3_.uses_flat_scratch, 0
	.set _ZN7rocprim17ROCPRIM_304000_NS6detail18single_scan_kernelILb0ENS1_19wrapped_scan_configINS0_14default_configEN3c107complexIdEEEEPKS7_PS7_St4plusIS7_ES7_S7_EEvT1_mT4_T2_T3_.has_dyn_sized_stack, 0
	.set _ZN7rocprim17ROCPRIM_304000_NS6detail18single_scan_kernelILb0ENS1_19wrapped_scan_configINS0_14default_configEN3c107complexIdEEEEPKS7_PS7_St4plusIS7_ES7_S7_EEvT1_mT4_T2_T3_.has_recursion, 0
	.set _ZN7rocprim17ROCPRIM_304000_NS6detail18single_scan_kernelILb0ENS1_19wrapped_scan_configINS0_14default_configEN3c107complexIdEEEEPKS7_PS7_St4plusIS7_ES7_S7_EEvT1_mT4_T2_T3_.has_indirect_call, 0
	.section	.AMDGPU.csdata,"",@progbits
; Kernel info:
; codeLenInByte = 2564
; TotalNumSgprs: 34
; NumVgprs: 93
; NumAgprs: 0
; TotalNumVgprs: 93
; ScratchSize: 0
; MemoryBound: 1
; FloatMode: 240
; IeeeMode: 1
; LDSByteSize: 20480 bytes/workgroup (compile time only)
; SGPRBlocks: 12
; VGPRBlocks: 12
; NumSGPRsForWavesPerEU: 102
; NumVGPRsForWavesPerEU: 97
; AccumOffset: 96
; Occupancy: 4
; WaveLimiterHint : 0
; COMPUTE_PGM_RSRC2:SCRATCH_EN: 0
; COMPUTE_PGM_RSRC2:USER_SGPR: 2
; COMPUTE_PGM_RSRC2:TRAP_HANDLER: 0
; COMPUTE_PGM_RSRC2:TGID_X_EN: 1
; COMPUTE_PGM_RSRC2:TGID_Y_EN: 0
; COMPUTE_PGM_RSRC2:TGID_Z_EN: 0
; COMPUTE_PGM_RSRC2:TIDIG_COMP_CNT: 0
; COMPUTE_PGM_RSRC3_GFX90A:ACCUM_OFFSET: 23
; COMPUTE_PGM_RSRC3_GFX90A:TG_SPLIT: 0
	.section	.text._ZN2at6native32tensor_kernel_scan_innermost_dimIN3c107complexIdEESt4plusIS4_EEEvPT_PKS7_jjjS7_T0_,"axG",@progbits,_ZN2at6native32tensor_kernel_scan_innermost_dimIN3c107complexIdEESt4plusIS4_EEEvPT_PKS7_jjjS7_T0_,comdat
	.protected	_ZN2at6native32tensor_kernel_scan_innermost_dimIN3c107complexIdEESt4plusIS4_EEEvPT_PKS7_jjjS7_T0_ ; -- Begin function _ZN2at6native32tensor_kernel_scan_innermost_dimIN3c107complexIdEESt4plusIS4_EEEvPT_PKS7_jjjS7_T0_
	.globl	_ZN2at6native32tensor_kernel_scan_innermost_dimIN3c107complexIdEESt4plusIS4_EEEvPT_PKS7_jjjS7_T0_
	.p2align	8
	.type	_ZN2at6native32tensor_kernel_scan_innermost_dimIN3c107complexIdEESt4plusIS4_EEEvPT_PKS7_jjjS7_T0_,@function
_ZN2at6native32tensor_kernel_scan_innermost_dimIN3c107complexIdEESt4plusIS4_EEEvPT_PKS7_jjjS7_T0_: ; @_ZN2at6native32tensor_kernel_scan_innermost_dimIN3c107complexIdEESt4plusIS4_EEEvPT_PKS7_jjjS7_T0_
; %bb.0:
	s_load_dwordx8 s[12:19], s[0:1], 0x0
	s_load_dwordx4 s[20:23], s[0:1], 0x20
	v_bfe_u32 v6, v0, 10, 10
	s_waitcnt lgkmcnt(0)
	s_lshl_b32 s3, 2, s18
	v_mul_lo_u32 v1, s3, v6
	s_mul_hi_u32 s4, s16, s17
	v_lshl_add_u32 v16, v1, 4, 0
	s_cmp_lg_u32 s4, 0
	s_mov_b64 s[4:5], -1
	s_cbranch_scc1 .LBB85_30
; %bb.1:
	s_load_dword s6, s[0:1], 0x44
	s_add_u32 s4, s0, 56
	s_addc_u32 s5, s1, 0
	s_waitcnt lgkmcnt(0)
	s_lshr_b32 s6, s6, 16
	s_mul_i32 s19, s2, s6
	s_cmp_ge_u32 s19, s16
	s_cbranch_scc1 .LBB85_29
; %bb.2:
	s_load_dword s29, s[4:5], 0x0
	s_lshl_b32 s28, 1, s18
	s_cmp_lg_u32 s17, 0
	s_cselect_b64 s[10:11], -1, 0
	v_and_b32_e32 v1, 0x3ff, v0
	v_lshl_add_u32 v7, v1, 4, v16
	s_lshl_b32 s4, s3, 4
	v_cndmask_b32_e64 v2, 0, 1, s[10:11]
	v_lshl_add_u32 v17, s28, 4, v7
	v_cmp_eq_u32_e64 s[8:9], 0, v1
	v_add3_u32 v18, v16, s4, -16
	s_waitcnt lgkmcnt(0)
	s_mul_i32 s29, s29, s6
	s_add_i32 s30, s18, 1
	v_cmp_ne_u32_e64 s[4:5], 1, v2
	v_mov_b32_e32 v9, 0
	s_branch .LBB85_4
.LBB85_3:                               ;   in Loop: Header=BB85_4 Depth=1
	s_add_i32 s19, s19, s29
	s_cmp_ge_u32 s19, s16
	s_cbranch_scc1 .LBB85_29
.LBB85_4:                               ; =>This Loop Header: Depth=1
                                        ;     Child Loop BB85_7 Depth 2
                                        ;       Child Loop BB85_18 Depth 3
	s_and_b64 vcc, exec, s[4:5]
	s_cbranch_vccnz .LBB85_3
; %bb.5:                                ;   in Loop: Header=BB85_4 Depth=1
	v_add_u32_e32 v4, s19, v6
	v_mul_lo_u32 v8, v4, s17
	v_lshlrev_b64 v[2:3], 4, v[8:9]
	v_lshl_add_u64 v[10:11], s[14:15], 0, v[2:3]
	v_lshl_add_u64 v[12:13], s[12:13], 0, v[2:3]
	v_cmp_gt_u32_e32 vcc, s16, v4
	v_cmp_le_u32_e64 s[6:7], s16, v4
	s_mov_b32 s31, 0
	v_mov_b64_e32 v[2:3], s[20:21]
	v_mov_b64_e32 v[4:5], s[22:23]
	s_branch .LBB85_7
.LBB85_6:                               ;   in Loop: Header=BB85_7 Depth=2
	s_or_b64 exec, exec, s[24:25]
	ds_read_b128 v[2:5], v18
	s_add_i32 s31, s31, s3
	s_cmp_ge_u32 s31, s17
	s_waitcnt lgkmcnt(0)
	s_barrier
	s_cbranch_scc1 .LBB85_3
.LBB85_7:                               ;   Parent Loop BB85_4 Depth=1
                                        ; =>  This Loop Header: Depth=2
                                        ;       Child Loop BB85_18 Depth 3
	v_add_u32_e32 v8, s31, v1
	v_add_u32_e32 v14, s28, v8
	s_and_saveexec_b64 s[24:25], vcc
	s_cbranch_execz .LBB85_16
; %bb.8:                                ;   in Loop: Header=BB85_7 Depth=2
	v_cmp_le_u32_e64 s[10:11], s17, v8
	s_and_saveexec_b64 s[26:27], s[10:11]
	s_xor_b64 s[10:11], exec, s[26:27]
; %bb.9:                                ;   in Loop: Header=BB85_7 Depth=2
	v_mov_b32_e32 v20, s20
	v_mov_b32_e32 v21, s21
	;; [unrolled: 1-line block ×4, first 2 shown]
	ds_write_b128 v7, v[20:23]
; %bb.10:                               ;   in Loop: Header=BB85_7 Depth=2
	s_andn2_saveexec_b64 s[10:11], s[10:11]
	s_cbranch_execz .LBB85_12
; %bb.11:                               ;   in Loop: Header=BB85_7 Depth=2
	v_lshl_add_u64 v[20:21], v[8:9], 4, v[10:11]
	global_load_dwordx4 v[20:23], v[20:21], off
	s_waitcnt vmcnt(0)
	ds_write_b128 v7, v[20:23]
.LBB85_12:                              ;   in Loop: Header=BB85_7 Depth=2
	s_or_b64 exec, exec, s[10:11]
	v_cmp_le_u32_e64 s[10:11], s17, v14
	s_and_saveexec_b64 s[26:27], s[10:11]
	s_xor_b64 s[10:11], exec, s[26:27]
	s_cbranch_execnz .LBB85_27
; %bb.13:                               ;   in Loop: Header=BB85_7 Depth=2
	s_andn2_saveexec_b64 s[10:11], s[10:11]
	s_cbranch_execnz .LBB85_28
.LBB85_14:                              ;   in Loop: Header=BB85_7 Depth=2
	s_or_b64 exec, exec, s[10:11]
	s_and_b64 exec, exec, s[8:9]
	s_cbranch_execz .LBB85_16
.LBB85_15:                              ;   in Loop: Header=BB85_7 Depth=2
	ds_read_b128 v[20:23], v16
	s_waitcnt lgkmcnt(0)
	v_add_f64 v[2:3], v[2:3], v[20:21]
	v_add_f64 v[4:5], v[4:5], v[22:23]
	ds_write_b128 v16, v[2:5]
.LBB85_16:                              ;   in Loop: Header=BB85_7 Depth=2
	s_or_b64 exec, exec, s[24:25]
	v_mov_b32_e32 v2, 0
	s_mov_b64 s[24:25], 0
	s_waitcnt lgkmcnt(0)
	s_barrier
	s_branch .LBB85_18
.LBB85_17:                              ;   in Loop: Header=BB85_18 Depth=3
	s_or_b64 exec, exec, s[10:11]
	v_cmp_eq_u32_e64 s[10:11], s30, v2
	s_or_b64 s[24:25], s[10:11], s[24:25]
	s_waitcnt lgkmcnt(0)
	s_barrier
	s_andn2_b64 exec, exec, s[24:25]
	s_cbranch_execz .LBB85_22
.LBB85_18:                              ;   Parent Loop BB85_4 Depth=1
                                        ;     Parent Loop BB85_7 Depth=2
                                        ; =>    This Inner Loop Header: Depth=3
	v_add_u32_e32 v3, 1, v2
	s_and_saveexec_b64 s[10:11], s[6:7]
	s_xor_b64 s[10:11], exec, s[10:11]
; %bb.19:                               ;   in Loop: Header=BB85_18 Depth=3
	v_add_u32_e32 v2, 1, v2
                                        ; implicit-def: $vgpr3
; %bb.20:                               ;   in Loop: Header=BB85_18 Depth=3
	s_andn2_saveexec_b64 s[10:11], s[10:11]
	s_cbranch_execz .LBB85_17
; %bb.21:                               ;   in Loop: Header=BB85_18 Depth=3
	v_lshlrev_b32_e64 v4, v2, 1
	v_lshrrev_b32_e32 v5, v2, v1
	v_lshl_or_b32 v4, v5, v3, v4
	v_bfm_b32 v2, v2, 0
	v_and_b32_e32 v2, v2, v1
	v_lshl_add_u32 v4, v4, 4, v16
	v_lshl_add_u32 v2, v2, 4, v4
	v_add_u32_e32 v4, -16, v4
	ds_read_b128 v[20:23], v2
	ds_read_b128 v[24:27], v4
	s_waitcnt lgkmcnt(0)
	v_add_f64 v[20:21], v[20:21], v[24:25]
	v_add_f64 v[22:23], v[22:23], v[26:27]
	ds_write_b128 v2, v[20:23]
	v_mov_b32_e32 v2, v3
	s_branch .LBB85_17
.LBB85_22:                              ;   in Loop: Header=BB85_7 Depth=2
	s_or_b64 exec, exec, s[24:25]
	s_and_saveexec_b64 s[24:25], vcc
	s_cbranch_execz .LBB85_6
; %bb.23:                               ;   in Loop: Header=BB85_7 Depth=2
	v_cmp_gt_u32_e64 s[10:11], s17, v8
	s_and_saveexec_b64 s[26:27], s[10:11]
	s_cbranch_execz .LBB85_25
; %bb.24:                               ;   in Loop: Header=BB85_7 Depth=2
	ds_read_b128 v[2:5], v7
	v_lshl_add_u64 v[20:21], v[8:9], 4, v[12:13]
	s_waitcnt lgkmcnt(0)
	global_store_dwordx4 v[20:21], v[2:5], off
.LBB85_25:                              ;   in Loop: Header=BB85_7 Depth=2
	s_or_b64 exec, exec, s[26:27]
	v_cmp_gt_u32_e64 s[10:11], s17, v14
	s_and_b64 exec, exec, s[10:11]
	s_cbranch_execz .LBB85_6
; %bb.26:                               ;   in Loop: Header=BB85_7 Depth=2
	ds_read_b128 v[2:5], v17
	v_mov_b32_e32 v15, v9
	v_lshl_add_u64 v[14:15], v[14:15], 4, v[12:13]
	s_waitcnt lgkmcnt(0)
	global_store_dwordx4 v[14:15], v[2:5], off
	s_branch .LBB85_6
.LBB85_27:                              ;   in Loop: Header=BB85_7 Depth=2
	v_mov_b32_e32 v20, s20
	v_mov_b32_e32 v21, s21
	;; [unrolled: 1-line block ×4, first 2 shown]
	ds_write_b128 v17, v[20:23]
	s_andn2_saveexec_b64 s[10:11], s[10:11]
	s_cbranch_execz .LBB85_14
.LBB85_28:                              ;   in Loop: Header=BB85_7 Depth=2
	v_mov_b32_e32 v15, v9
	v_lshl_add_u64 v[20:21], v[14:15], 4, v[10:11]
	global_load_dwordx4 v[20:23], v[20:21], off
	s_waitcnt vmcnt(0)
	ds_write_b128 v17, v[20:23]
	s_or_b64 exec, exec, s[10:11]
	s_and_b64 exec, exec, s[8:9]
	s_cbranch_execnz .LBB85_15
	s_branch .LBB85_16
.LBB85_29:
	s_mov_b64 s[4:5], 0
.LBB85_30:
	s_andn2_b64 vcc, exec, s[4:5]
	s_cbranch_vccnz .LBB85_61
; %bb.31:
	s_load_dword s3, s[0:1], 0x44
	s_add_u32 s0, s0, 56
	s_mov_b32 s9, 0
	s_addc_u32 s1, s1, 0
	s_mov_b32 s8, s16
	s_waitcnt lgkmcnt(0)
	s_lshr_b32 s3, s3, 16
	s_mul_hi_u32 s11, s3, s2
	s_mul_i32 s10, s3, s2
	v_mov_b64_e32 v[2:3], s[8:9]
	v_cmp_ge_u64_e32 vcc, s[10:11], v[2:3]
	s_cbranch_vccnz .LBB85_61
; %bb.32:
	s_lshl_b32 s24, 1, s18
	s_load_dword s5, s[0:1], 0x0
	s_and_b32 s4, 0xffff, s3
	s_ashr_i32 s25, s24, 31
	s_cmp_lg_u32 s17, 0
	s_mov_b32 s26, s17
	s_cselect_b64 s[2:3], -1, 0
	v_and_b32_e32 v4, 0x3ff, v0
	s_lshl_b64 s[16:17], s[24:25], 1
	v_mov_b32_e32 v7, 0
	v_lshl_add_u32 v17, v4, 4, v16
	s_lshl_b32 s6, s16, 4
	v_cndmask_b32_e64 v0, 0, 1, s[2:3]
	s_mov_b32 s27, s9
	v_mov_b32_e32 v5, v7
	v_lshl_add_u32 v18, s24, 4, v17
	v_cmp_eq_u32_e64 s[0:1], 0, v4
	v_add3_u32 v19, v16, s6, -16
	s_waitcnt lgkmcnt(0)
	s_mul_i32 s33, s5, s4
	s_add_i32 s36, s18, 1
	v_cmp_ne_u32_e64 s[2:3], 1, v0
	s_branch .LBB85_34
.LBB85_33:                              ;   in Loop: Header=BB85_34 Depth=1
	s_add_u32 s10, s10, s33
	s_addc_u32 s11, s11, 0
	v_mov_b64_e32 v[0:1], s[8:9]
	v_cmp_ge_u64_e32 vcc, s[10:11], v[0:1]
	s_cbranch_vccnz .LBB85_61
.LBB85_34:                              ; =>This Loop Header: Depth=1
                                        ;     Child Loop BB85_37 Depth 2
                                        ;       Child Loop BB85_49 Depth 3
	s_and_b64 vcc, exec, s[2:3]
	s_cbranch_vccnz .LBB85_33
; %bb.35:                               ;   in Loop: Header=BB85_34 Depth=1
	v_lshl_add_u64 v[0:1], s[10:11], 0, v[6:7]
	v_mad_u64_u32 v[2:3], s[4:5], v0, s26, 0
	v_mov_b32_e32 v8, v3
	v_mad_u64_u32 v[8:9], s[4:5], v1, s26, v[8:9]
	v_mov_b32_e32 v3, v8
	v_lshlrev_b64 v[2:3], 4, v[2:3]
	v_lshl_add_u64 v[8:9], s[14:15], 0, v[2:3]
	v_lshl_add_u64 v[10:11], s[12:13], 0, v[2:3]
	v_cmp_gt_u64_e64 s[4:5], s[8:9], v[0:1]
	v_cmp_le_u64_e64 s[6:7], s[8:9], v[0:1]
	s_mov_b64 s[18:19], 0
	v_mov_b64_e32 v[0:1], s[20:21]
	v_mov_b64_e32 v[2:3], s[22:23]
	s_branch .LBB85_37
.LBB85_36:                              ;   in Loop: Header=BB85_37 Depth=2
	s_or_b64 exec, exec, s[28:29]
	ds_read_b128 v[0:3], v19
	s_add_u32 s18, s18, s16
	s_addc_u32 s19, s19, s17
	v_mov_b64_e32 v[12:13], s[26:27]
	v_cmp_ge_u64_e32 vcc, s[18:19], v[12:13]
	s_waitcnt lgkmcnt(0)
	s_barrier
	s_cbranch_vccnz .LBB85_33
.LBB85_37:                              ;   Parent Loop BB85_34 Depth=1
                                        ; =>  This Loop Header: Depth=2
                                        ;       Child Loop BB85_49 Depth 3
	v_lshl_add_u64 v[14:15], s[18:19], 0, v[4:5]
	v_lshl_add_u64 v[12:13], v[14:15], 0, s[24:25]
	s_and_saveexec_b64 s[28:29], s[4:5]
	s_cbranch_execz .LBB85_46
; %bb.38:                               ;   in Loop: Header=BB85_37 Depth=2
	v_cmp_le_u64_e32 vcc, s[26:27], v[14:15]
	s_and_saveexec_b64 s[30:31], vcc
	s_xor_b64 s[30:31], exec, s[30:31]
; %bb.39:                               ;   in Loop: Header=BB85_37 Depth=2
	v_mov_b32_e32 v20, s20
	v_mov_b32_e32 v21, s21
	;; [unrolled: 1-line block ×4, first 2 shown]
	ds_write_b128 v17, v[20:23]
; %bb.40:                               ;   in Loop: Header=BB85_37 Depth=2
	s_andn2_saveexec_b64 s[30:31], s[30:31]
	s_cbranch_execz .LBB85_42
; %bb.41:                               ;   in Loop: Header=BB85_37 Depth=2
	v_lshl_add_u64 v[20:21], v[14:15], 4, v[8:9]
	global_load_dwordx4 v[20:23], v[20:21], off
	s_waitcnt vmcnt(0)
	ds_write_b128 v17, v[20:23]
.LBB85_42:                              ;   in Loop: Header=BB85_37 Depth=2
	s_or_b64 exec, exec, s[30:31]
	v_cmp_le_u64_e32 vcc, s[26:27], v[12:13]
	s_and_saveexec_b64 s[30:31], vcc
	s_xor_b64 s[30:31], exec, s[30:31]
	s_cbranch_execnz .LBB85_59
; %bb.43:                               ;   in Loop: Header=BB85_37 Depth=2
	s_andn2_saveexec_b64 s[30:31], s[30:31]
	s_cbranch_execnz .LBB85_60
.LBB85_44:                              ;   in Loop: Header=BB85_37 Depth=2
	s_or_b64 exec, exec, s[30:31]
	s_and_b64 exec, exec, s[0:1]
	s_cbranch_execz .LBB85_46
.LBB85_45:                              ;   in Loop: Header=BB85_37 Depth=2
	ds_read_b128 v[20:23], v16
	s_waitcnt lgkmcnt(0)
	v_add_f64 v[0:1], v[0:1], v[20:21]
	v_add_f64 v[2:3], v[2:3], v[22:23]
	ds_write_b128 v16, v[0:3]
.LBB85_46:                              ;   in Loop: Header=BB85_37 Depth=2
	s_or_b64 exec, exec, s[28:29]
	v_mov_b32_e32 v21, 0
	s_mov_b64 s[28:29], 0
	s_waitcnt lgkmcnt(0)
	s_barrier
	s_branch .LBB85_49
.LBB85_47:                              ;   in Loop: Header=BB85_49 Depth=3
	s_or_b64 exec, exec, s[34:35]
	v_lshrrev_b32_e32 v1, v21, v4
	v_lshl_or_b32 v0, v1, v20, v0
	v_lshl_add_u32 v0, v0, 4, v16
	v_lshl_add_u32 v21, v2, 4, v0
	v_add_u32_e32 v22, -16, v0
	ds_read_b128 v[0:3], v21
	ds_read_b128 v[22:25], v22
	s_waitcnt lgkmcnt(0)
	v_add_f64 v[0:1], v[0:1], v[22:23]
	v_add_f64 v[2:3], v[2:3], v[24:25]
	ds_write_b128 v21, v[0:3]
.LBB85_48:                              ;   in Loop: Header=BB85_49 Depth=3
	s_or_b64 exec, exec, s[30:31]
	v_cmp_eq_u32_e32 vcc, s36, v20
	s_or_b64 s[28:29], vcc, s[28:29]
	v_mov_b32_e32 v21, v20
	s_waitcnt lgkmcnt(0)
	s_barrier
	s_andn2_b64 exec, exec, s[28:29]
	s_cbranch_execz .LBB85_54
.LBB85_49:                              ;   Parent Loop BB85_34 Depth=1
                                        ;     Parent Loop BB85_37 Depth=2
                                        ; =>    This Inner Loop Header: Depth=3
	v_add_u32_e32 v20, 1, v21
	s_and_saveexec_b64 s[30:31], s[6:7]
	s_xor_b64 s[30:31], exec, s[30:31]
; %bb.50:                               ;   in Loop: Header=BB85_49 Depth=3
	v_add_u32_e32 v20, 1, v21
                                        ; implicit-def: $vgpr21
; %bb.51:                               ;   in Loop: Header=BB85_49 Depth=3
	s_andn2_saveexec_b64 s[30:31], s[30:31]
	s_cbranch_execz .LBB85_48
; %bb.52:                               ;   in Loop: Header=BB85_49 Depth=3
	v_lshlrev_b32_e64 v0, v21, 1
	v_ashrrev_i32_e32 v1, 31, v0
	v_cmp_ge_u64_e32 vcc, v[4:5], v[0:1]
	v_mov_b64_e32 v[2:3], v[4:5]
	s_and_saveexec_b64 s[34:35], vcc
	s_cbranch_execz .LBB85_47
; %bb.53:                               ;   in Loop: Header=BB85_49 Depth=3
	v_cvt_f32_u32_e32 v1, v0
	v_sub_u32_e32 v2, 0, v0
	v_rcp_iflag_f32_e32 v1, v1
	s_nop 0
	v_mul_f32_e32 v1, 0x4f7ffffe, v1
	v_cvt_u32_f32_e32 v1, v1
	v_mul_lo_u32 v2, v2, v1
	v_mul_hi_u32 v2, v1, v2
	v_add_u32_e32 v1, v1, v2
	v_mul_hi_u32 v1, v4, v1
	v_mul_lo_u32 v1, v1, v0
	v_sub_u32_e32 v1, v4, v1
	v_sub_u32_e32 v2, v1, v0
	v_cmp_ge_u32_e32 vcc, v1, v0
	s_nop 1
	v_cndmask_b32_e32 v1, v1, v2, vcc
	v_sub_u32_e32 v2, v1, v0
	v_cmp_ge_u32_e32 vcc, v1, v0
	s_nop 1
	v_cndmask_b32_e32 v2, v1, v2, vcc
	s_branch .LBB85_47
.LBB85_54:                              ;   in Loop: Header=BB85_37 Depth=2
	s_or_b64 exec, exec, s[28:29]
	s_and_saveexec_b64 s[28:29], s[4:5]
	s_cbranch_execz .LBB85_36
; %bb.55:                               ;   in Loop: Header=BB85_37 Depth=2
	v_cmp_gt_u64_e32 vcc, s[26:27], v[14:15]
	s_and_saveexec_b64 s[30:31], vcc
	s_cbranch_execz .LBB85_57
; %bb.56:                               ;   in Loop: Header=BB85_37 Depth=2
	ds_read_b128 v[0:3], v17
	v_lshl_add_u64 v[14:15], v[14:15], 4, v[10:11]
	s_waitcnt lgkmcnt(0)
	global_store_dwordx4 v[14:15], v[0:3], off
.LBB85_57:                              ;   in Loop: Header=BB85_37 Depth=2
	s_or_b64 exec, exec, s[30:31]
	v_cmp_gt_u64_e32 vcc, s[26:27], v[12:13]
	s_and_b64 exec, exec, vcc
	s_cbranch_execz .LBB85_36
; %bb.58:                               ;   in Loop: Header=BB85_37 Depth=2
	ds_read_b128 v[0:3], v18
	v_lshl_add_u64 v[12:13], v[12:13], 4, v[10:11]
	s_waitcnt lgkmcnt(0)
	global_store_dwordx4 v[12:13], v[0:3], off
	s_branch .LBB85_36
.LBB85_59:                              ;   in Loop: Header=BB85_37 Depth=2
	v_mov_b32_e32 v20, s20
	v_mov_b32_e32 v21, s21
	;; [unrolled: 1-line block ×4, first 2 shown]
	ds_write_b128 v18, v[20:23]
	s_andn2_saveexec_b64 s[30:31], s[30:31]
	s_cbranch_execz .LBB85_44
.LBB85_60:                              ;   in Loop: Header=BB85_37 Depth=2
	v_lshl_add_u64 v[20:21], v[12:13], 4, v[8:9]
	global_load_dwordx4 v[20:23], v[20:21], off
	s_waitcnt vmcnt(0)
	ds_write_b128 v18, v[20:23]
	s_or_b64 exec, exec, s[30:31]
	s_and_b64 exec, exec, s[0:1]
	s_cbranch_execnz .LBB85_45
	s_branch .LBB85_46
.LBB85_61:
	s_endpgm
	.section	.rodata,"a",@progbits
	.p2align	6, 0x0
	.amdhsa_kernel _ZN2at6native32tensor_kernel_scan_innermost_dimIN3c107complexIdEESt4plusIS4_EEEvPT_PKS7_jjjS7_T0_
		.amdhsa_group_segment_fixed_size 0
		.amdhsa_private_segment_fixed_size 0
		.amdhsa_kernarg_size 312
		.amdhsa_user_sgpr_count 2
		.amdhsa_user_sgpr_dispatch_ptr 0
		.amdhsa_user_sgpr_queue_ptr 0
		.amdhsa_user_sgpr_kernarg_segment_ptr 1
		.amdhsa_user_sgpr_dispatch_id 0
		.amdhsa_user_sgpr_kernarg_preload_length 0
		.amdhsa_user_sgpr_kernarg_preload_offset 0
		.amdhsa_user_sgpr_private_segment_size 0
		.amdhsa_uses_dynamic_stack 0
		.amdhsa_enable_private_segment 0
		.amdhsa_system_sgpr_workgroup_id_x 1
		.amdhsa_system_sgpr_workgroup_id_y 0
		.amdhsa_system_sgpr_workgroup_id_z 0
		.amdhsa_system_sgpr_workgroup_info 0
		.amdhsa_system_vgpr_workitem_id 1
		.amdhsa_next_free_vgpr 28
		.amdhsa_next_free_sgpr 37
		.amdhsa_accum_offset 28
		.amdhsa_reserve_vcc 1
		.amdhsa_float_round_mode_32 0
		.amdhsa_float_round_mode_16_64 0
		.amdhsa_float_denorm_mode_32 3
		.amdhsa_float_denorm_mode_16_64 3
		.amdhsa_dx10_clamp 1
		.amdhsa_ieee_mode 1
		.amdhsa_fp16_overflow 0
		.amdhsa_tg_split 0
		.amdhsa_exception_fp_ieee_invalid_op 0
		.amdhsa_exception_fp_denorm_src 0
		.amdhsa_exception_fp_ieee_div_zero 0
		.amdhsa_exception_fp_ieee_overflow 0
		.amdhsa_exception_fp_ieee_underflow 0
		.amdhsa_exception_fp_ieee_inexact 0
		.amdhsa_exception_int_div_zero 0
	.end_amdhsa_kernel
	.section	.text._ZN2at6native32tensor_kernel_scan_innermost_dimIN3c107complexIdEESt4plusIS4_EEEvPT_PKS7_jjjS7_T0_,"axG",@progbits,_ZN2at6native32tensor_kernel_scan_innermost_dimIN3c107complexIdEESt4plusIS4_EEEvPT_PKS7_jjjS7_T0_,comdat
.Lfunc_end85:
	.size	_ZN2at6native32tensor_kernel_scan_innermost_dimIN3c107complexIdEESt4plusIS4_EEEvPT_PKS7_jjjS7_T0_, .Lfunc_end85-_ZN2at6native32tensor_kernel_scan_innermost_dimIN3c107complexIdEESt4plusIS4_EEEvPT_PKS7_jjjS7_T0_
                                        ; -- End function
	.set _ZN2at6native32tensor_kernel_scan_innermost_dimIN3c107complexIdEESt4plusIS4_EEEvPT_PKS7_jjjS7_T0_.num_vgpr, 28
	.set _ZN2at6native32tensor_kernel_scan_innermost_dimIN3c107complexIdEESt4plusIS4_EEEvPT_PKS7_jjjS7_T0_.num_agpr, 0
	.set _ZN2at6native32tensor_kernel_scan_innermost_dimIN3c107complexIdEESt4plusIS4_EEEvPT_PKS7_jjjS7_T0_.numbered_sgpr, 37
	.set _ZN2at6native32tensor_kernel_scan_innermost_dimIN3c107complexIdEESt4plusIS4_EEEvPT_PKS7_jjjS7_T0_.num_named_barrier, 0
	.set _ZN2at6native32tensor_kernel_scan_innermost_dimIN3c107complexIdEESt4plusIS4_EEEvPT_PKS7_jjjS7_T0_.private_seg_size, 0
	.set _ZN2at6native32tensor_kernel_scan_innermost_dimIN3c107complexIdEESt4plusIS4_EEEvPT_PKS7_jjjS7_T0_.uses_vcc, 1
	.set _ZN2at6native32tensor_kernel_scan_innermost_dimIN3c107complexIdEESt4plusIS4_EEEvPT_PKS7_jjjS7_T0_.uses_flat_scratch, 0
	.set _ZN2at6native32tensor_kernel_scan_innermost_dimIN3c107complexIdEESt4plusIS4_EEEvPT_PKS7_jjjS7_T0_.has_dyn_sized_stack, 0
	.set _ZN2at6native32tensor_kernel_scan_innermost_dimIN3c107complexIdEESt4plusIS4_EEEvPT_PKS7_jjjS7_T0_.has_recursion, 0
	.set _ZN2at6native32tensor_kernel_scan_innermost_dimIN3c107complexIdEESt4plusIS4_EEEvPT_PKS7_jjjS7_T0_.has_indirect_call, 0
	.section	.AMDGPU.csdata,"",@progbits
; Kernel info:
; codeLenInByte = 1856
; TotalNumSgprs: 43
; NumVgprs: 28
; NumAgprs: 0
; TotalNumVgprs: 28
; ScratchSize: 0
; MemoryBound: 0
; FloatMode: 240
; IeeeMode: 1
; LDSByteSize: 0 bytes/workgroup (compile time only)
; SGPRBlocks: 5
; VGPRBlocks: 3
; NumSGPRsForWavesPerEU: 43
; NumVGPRsForWavesPerEU: 28
; AccumOffset: 28
; Occupancy: 8
; WaveLimiterHint : 0
; COMPUTE_PGM_RSRC2:SCRATCH_EN: 0
; COMPUTE_PGM_RSRC2:USER_SGPR: 2
; COMPUTE_PGM_RSRC2:TRAP_HANDLER: 0
; COMPUTE_PGM_RSRC2:TGID_X_EN: 1
; COMPUTE_PGM_RSRC2:TGID_Y_EN: 0
; COMPUTE_PGM_RSRC2:TGID_Z_EN: 0
; COMPUTE_PGM_RSRC2:TIDIG_COMP_CNT: 1
; COMPUTE_PGM_RSRC3_GFX90A:ACCUM_OFFSET: 6
; COMPUTE_PGM_RSRC3_GFX90A:TG_SPLIT: 0
	.section	.text._ZN2at6native28tensor_kernel_scan_outer_dimIN3c107complexIdEEjSt4plusIS4_EEEvPT_PKS7_jjjS7_T1_,"axG",@progbits,_ZN2at6native28tensor_kernel_scan_outer_dimIN3c107complexIdEEjSt4plusIS4_EEEvPT_PKS7_jjjS7_T1_,comdat
	.protected	_ZN2at6native28tensor_kernel_scan_outer_dimIN3c107complexIdEEjSt4plusIS4_EEEvPT_PKS7_jjjS7_T1_ ; -- Begin function _ZN2at6native28tensor_kernel_scan_outer_dimIN3c107complexIdEEjSt4plusIS4_EEEvPT_PKS7_jjjS7_T1_
	.globl	_ZN2at6native28tensor_kernel_scan_outer_dimIN3c107complexIdEEjSt4plusIS4_EEEvPT_PKS7_jjjS7_T1_
	.p2align	8
	.type	_ZN2at6native28tensor_kernel_scan_outer_dimIN3c107complexIdEEjSt4plusIS4_EEEvPT_PKS7_jjjS7_T1_,@function
_ZN2at6native28tensor_kernel_scan_outer_dimIN3c107complexIdEEjSt4plusIS4_EEEvPT_PKS7_jjjS7_T1_: ; @_ZN2at6native28tensor_kernel_scan_outer_dimIN3c107complexIdEEjSt4plusIS4_EEEvPT_PKS7_jjjS7_T1_
; %bb.0:
	s_load_dwordx4 s[8:11], s[0:1], 0x10
	s_waitcnt lgkmcnt(0)
	s_cmp_ge_u32 s2, s8
	s_cbranch_scc1 .LBB86_9
; %bb.1:
	s_load_dword s11, s[0:1], 0x38
	s_load_dword s4, s[0:1], 0x44
	s_load_dwordx4 s[12:15], s[0:1], 0x0
	s_load_dwordx4 s[16:19], s[0:1], 0x20
	s_add_u32 s6, s0, 56
	s_addc_u32 s7, s1, 0
	s_waitcnt lgkmcnt(0)
	s_and_b32 s30, s4, 0xffff
	s_mul_i32 s3, s3, s30
	s_cmp_lg_u32 s10, 0
	v_add_u32_e32 v8, s3, v0
	s_cselect_b64 s[4:5], -1, 0
	s_mul_i32 s3, s2, s10
	s_mov_b32 s21, 0
	s_mov_b32 s20, s9
	s_mul_i32 s24, s3, s9
	s_mul_i32 s3, s11, s10
	v_cndmask_b32_e64 v0, 0, 1, s[4:5]
	v_cmp_gt_u32_e64 s[0:1], s9, v8
	s_mul_i32 s3, s3, s9
	s_lshl_b64 s[22:23], s[20:21], 4
	v_cmp_ne_u32_e64 s[4:5], 1, v0
	v_mov_b32_e32 v5, 0
	s_mov_b32 s20, s24
	s_branch .LBB86_3
.LBB86_2:                               ;   in Loop: Header=BB86_3 Depth=1
	s_or_b64 exec, exec, s[24:25]
	s_add_i32 s2, s11, s2
	s_add_i32 s20, s20, s3
	s_cmp_ge_u32 s2, s8
	s_cbranch_scc1 .LBB86_9
.LBB86_3:                               ; =>This Loop Header: Depth=1
                                        ;     Child Loop BB86_6 Depth 2
                                        ;       Child Loop BB86_8 Depth 3
	s_and_saveexec_b64 s[24:25], s[0:1]
	s_cbranch_execz .LBB86_2
; %bb.4:                                ;   in Loop: Header=BB86_3 Depth=1
	s_load_dword s31, s[6:7], 0x4
	s_lshl_b64 s[26:27], s[20:21], 4
	s_mov_b64 s[28:29], 0
	s_or_b32 s26, s26, 8
	v_mov_b32_e32 v4, v8
	s_waitcnt lgkmcnt(0)
	s_mul_i32 s31, s31, s30
	s_branch .LBB86_6
.LBB86_5:                               ;   in Loop: Header=BB86_6 Depth=2
	v_add_u32_e32 v4, s31, v4
	v_cmp_le_u32_e32 vcc, s9, v4
	s_or_b64 s[28:29], vcc, s[28:29]
	s_andn2_b64 exec, exec, s[28:29]
	s_cbranch_execz .LBB86_2
.LBB86_6:                               ;   Parent Loop BB86_3 Depth=1
                                        ; =>  This Loop Header: Depth=2
                                        ;       Child Loop BB86_8 Depth 3
	s_and_b64 vcc, exec, s[4:5]
	s_cbranch_vccnz .LBB86_5
; %bb.7:                                ;   in Loop: Header=BB86_6 Depth=2
	v_lshl_add_u64 v[6:7], v[4:5], 4, s[26:27]
	v_mov_b64_e32 v[2:3], s[18:19]
	v_mov_b64_e32 v[0:1], s[16:17]
	s_mov_b32 s33, s10
.LBB86_8:                               ;   Parent Loop BB86_3 Depth=1
                                        ;     Parent Loop BB86_6 Depth=2
                                        ; =>    This Inner Loop Header: Depth=3
	v_lshl_add_u64 v[10:11], s[14:15], 0, v[6:7]
	global_load_dwordx4 v[10:13], v[10:11], off offset:-8
	s_add_i32 s33, s33, -1
	v_lshl_add_u64 v[14:15], s[12:13], 0, v[6:7]
	v_lshl_add_u64 v[6:7], v[6:7], 0, s[22:23]
	s_cmp_eq_u32 s33, 0
	s_waitcnt vmcnt(0)
	v_add_f64 v[0:1], v[0:1], v[10:11]
	v_add_f64 v[2:3], v[2:3], v[12:13]
	global_store_dwordx4 v[14:15], v[0:3], off offset:-8
	s_cbranch_scc0 .LBB86_8
	s_branch .LBB86_5
.LBB86_9:
	s_endpgm
	.section	.rodata,"a",@progbits
	.p2align	6, 0x0
	.amdhsa_kernel _ZN2at6native28tensor_kernel_scan_outer_dimIN3c107complexIdEEjSt4plusIS4_EEEvPT_PKS7_jjjS7_T1_
		.amdhsa_group_segment_fixed_size 0
		.amdhsa_private_segment_fixed_size 0
		.amdhsa_kernarg_size 312
		.amdhsa_user_sgpr_count 2
		.amdhsa_user_sgpr_dispatch_ptr 0
		.amdhsa_user_sgpr_queue_ptr 0
		.amdhsa_user_sgpr_kernarg_segment_ptr 1
		.amdhsa_user_sgpr_dispatch_id 0
		.amdhsa_user_sgpr_kernarg_preload_length 0
		.amdhsa_user_sgpr_kernarg_preload_offset 0
		.amdhsa_user_sgpr_private_segment_size 0
		.amdhsa_uses_dynamic_stack 0
		.amdhsa_enable_private_segment 0
		.amdhsa_system_sgpr_workgroup_id_x 1
		.amdhsa_system_sgpr_workgroup_id_y 1
		.amdhsa_system_sgpr_workgroup_id_z 0
		.amdhsa_system_sgpr_workgroup_info 0
		.amdhsa_system_vgpr_workitem_id 0
		.amdhsa_next_free_vgpr 16
		.amdhsa_next_free_sgpr 34
		.amdhsa_accum_offset 16
		.amdhsa_reserve_vcc 1
		.amdhsa_float_round_mode_32 0
		.amdhsa_float_round_mode_16_64 0
		.amdhsa_float_denorm_mode_32 3
		.amdhsa_float_denorm_mode_16_64 3
		.amdhsa_dx10_clamp 1
		.amdhsa_ieee_mode 1
		.amdhsa_fp16_overflow 0
		.amdhsa_tg_split 0
		.amdhsa_exception_fp_ieee_invalid_op 0
		.amdhsa_exception_fp_denorm_src 0
		.amdhsa_exception_fp_ieee_div_zero 0
		.amdhsa_exception_fp_ieee_overflow 0
		.amdhsa_exception_fp_ieee_underflow 0
		.amdhsa_exception_fp_ieee_inexact 0
		.amdhsa_exception_int_div_zero 0
	.end_amdhsa_kernel
	.section	.text._ZN2at6native28tensor_kernel_scan_outer_dimIN3c107complexIdEEjSt4plusIS4_EEEvPT_PKS7_jjjS7_T1_,"axG",@progbits,_ZN2at6native28tensor_kernel_scan_outer_dimIN3c107complexIdEEjSt4plusIS4_EEEvPT_PKS7_jjjS7_T1_,comdat
.Lfunc_end86:
	.size	_ZN2at6native28tensor_kernel_scan_outer_dimIN3c107complexIdEEjSt4plusIS4_EEEvPT_PKS7_jjjS7_T1_, .Lfunc_end86-_ZN2at6native28tensor_kernel_scan_outer_dimIN3c107complexIdEEjSt4plusIS4_EEEvPT_PKS7_jjjS7_T1_
                                        ; -- End function
	.set _ZN2at6native28tensor_kernel_scan_outer_dimIN3c107complexIdEEjSt4plusIS4_EEEvPT_PKS7_jjjS7_T1_.num_vgpr, 16
	.set _ZN2at6native28tensor_kernel_scan_outer_dimIN3c107complexIdEEjSt4plusIS4_EEEvPT_PKS7_jjjS7_T1_.num_agpr, 0
	.set _ZN2at6native28tensor_kernel_scan_outer_dimIN3c107complexIdEEjSt4plusIS4_EEEvPT_PKS7_jjjS7_T1_.numbered_sgpr, 34
	.set _ZN2at6native28tensor_kernel_scan_outer_dimIN3c107complexIdEEjSt4plusIS4_EEEvPT_PKS7_jjjS7_T1_.num_named_barrier, 0
	.set _ZN2at6native28tensor_kernel_scan_outer_dimIN3c107complexIdEEjSt4plusIS4_EEEvPT_PKS7_jjjS7_T1_.private_seg_size, 0
	.set _ZN2at6native28tensor_kernel_scan_outer_dimIN3c107complexIdEEjSt4plusIS4_EEEvPT_PKS7_jjjS7_T1_.uses_vcc, 1
	.set _ZN2at6native28tensor_kernel_scan_outer_dimIN3c107complexIdEEjSt4plusIS4_EEEvPT_PKS7_jjjS7_T1_.uses_flat_scratch, 0
	.set _ZN2at6native28tensor_kernel_scan_outer_dimIN3c107complexIdEEjSt4plusIS4_EEEvPT_PKS7_jjjS7_T1_.has_dyn_sized_stack, 0
	.set _ZN2at6native28tensor_kernel_scan_outer_dimIN3c107complexIdEEjSt4plusIS4_EEEvPT_PKS7_jjjS7_T1_.has_recursion, 0
	.set _ZN2at6native28tensor_kernel_scan_outer_dimIN3c107complexIdEEjSt4plusIS4_EEEvPT_PKS7_jjjS7_T1_.has_indirect_call, 0
	.section	.AMDGPU.csdata,"",@progbits
; Kernel info:
; codeLenInByte = 344
; TotalNumSgprs: 40
; NumVgprs: 16
; NumAgprs: 0
; TotalNumVgprs: 16
; ScratchSize: 0
; MemoryBound: 0
; FloatMode: 240
; IeeeMode: 1
; LDSByteSize: 0 bytes/workgroup (compile time only)
; SGPRBlocks: 4
; VGPRBlocks: 1
; NumSGPRsForWavesPerEU: 40
; NumVGPRsForWavesPerEU: 16
; AccumOffset: 16
; Occupancy: 8
; WaveLimiterHint : 0
; COMPUTE_PGM_RSRC2:SCRATCH_EN: 0
; COMPUTE_PGM_RSRC2:USER_SGPR: 2
; COMPUTE_PGM_RSRC2:TRAP_HANDLER: 0
; COMPUTE_PGM_RSRC2:TGID_X_EN: 1
; COMPUTE_PGM_RSRC2:TGID_Y_EN: 1
; COMPUTE_PGM_RSRC2:TGID_Z_EN: 0
; COMPUTE_PGM_RSRC2:TIDIG_COMP_CNT: 0
; COMPUTE_PGM_RSRC3_GFX90A:ACCUM_OFFSET: 3
; COMPUTE_PGM_RSRC3_GFX90A:TG_SPLIT: 0
	.section	.text._ZN2at6native28tensor_kernel_scan_outer_dimIN3c107complexIdEEmSt4plusIS4_EEEvPT_PKS7_jjjS7_T1_,"axG",@progbits,_ZN2at6native28tensor_kernel_scan_outer_dimIN3c107complexIdEEmSt4plusIS4_EEEvPT_PKS7_jjjS7_T1_,comdat
	.protected	_ZN2at6native28tensor_kernel_scan_outer_dimIN3c107complexIdEEmSt4plusIS4_EEEvPT_PKS7_jjjS7_T1_ ; -- Begin function _ZN2at6native28tensor_kernel_scan_outer_dimIN3c107complexIdEEmSt4plusIS4_EEEvPT_PKS7_jjjS7_T1_
	.globl	_ZN2at6native28tensor_kernel_scan_outer_dimIN3c107complexIdEEmSt4plusIS4_EEEvPT_PKS7_jjjS7_T1_
	.p2align	8
	.type	_ZN2at6native28tensor_kernel_scan_outer_dimIN3c107complexIdEEmSt4plusIS4_EEEvPT_PKS7_jjjS7_T1_,@function
_ZN2at6native28tensor_kernel_scan_outer_dimIN3c107complexIdEEmSt4plusIS4_EEEvPT_PKS7_jjjS7_T1_: ; @_ZN2at6native28tensor_kernel_scan_outer_dimIN3c107complexIdEEmSt4plusIS4_EEEvPT_PKS7_jjjS7_T1_
; %bb.0:
	s_load_dwordx4 s[8:11], s[0:1], 0x10
	s_waitcnt lgkmcnt(0)
	s_cmp_ge_u32 s2, s8
	s_cbranch_scc1 .LBB87_9
; %bb.1:
	s_load_dword s11, s[0:1], 0x38
	s_load_dword s4, s[0:1], 0x44
	s_load_dwordx4 s[12:15], s[0:1], 0x0
	s_load_dwordx4 s[16:19], s[0:1], 0x20
	s_add_u32 s6, s0, 56
	s_addc_u32 s7, s1, 0
	s_waitcnt lgkmcnt(0)
	s_and_b32 s30, s4, 0xffff
	s_cmp_lg_u32 s10, 0
	s_mul_i32 s3, s3, s30
	s_cselect_b64 s[24:25], -1, 0
	v_add_u32_e32 v8, s3, v0
	s_mov_b32 s5, 0
	s_mov_b32 s4, s9
	s_mul_hi_u32 s21, s10, s9
	s_mul_i32 s20, s10, s9
	v_cndmask_b32_e64 v0, 0, 1, s[24:25]
	v_cmp_gt_u32_e64 s[0:1], s9, v8
	s_lshl_b64 s[20:21], s[20:21], 4
	s_lshl_b64 s[22:23], s[4:5], 4
	v_cmp_ne_u32_e64 s[4:5], 1, v0
	v_mov_b32_e32 v5, 0
	s_branch .LBB87_3
.LBB87_2:                               ;   in Loop: Header=BB87_3 Depth=1
	s_or_b64 exec, exec, s[24:25]
	s_add_i32 s2, s2, s11
	s_cmp_ge_u32 s2, s8
	s_cbranch_scc1 .LBB87_9
.LBB87_3:                               ; =>This Loop Header: Depth=1
                                        ;     Child Loop BB87_6 Depth 2
                                        ;       Child Loop BB87_8 Depth 3
	s_and_saveexec_b64 s[24:25], s[0:1]
	s_cbranch_execz .LBB87_2
; %bb.4:                                ;   in Loop: Header=BB87_3 Depth=1
	s_load_dword s3, s[6:7], 0x4
	s_mul_i32 s26, s21, s2
	s_mul_hi_u32 s27, s20, s2
	s_mul_i32 s28, s20, s2
	s_add_i32 s27, s27, s26
	s_add_u32 s26, s28, 8
	s_waitcnt lgkmcnt(0)
	s_mul_i32 s3, s3, s30
	s_addc_u32 s27, s27, 0
	s_mov_b64 s[28:29], 0
	v_mov_b32_e32 v4, v8
	s_branch .LBB87_6
.LBB87_5:                               ;   in Loop: Header=BB87_6 Depth=2
	v_add_u32_e32 v4, s3, v4
	v_cmp_le_u32_e32 vcc, s9, v4
	s_or_b64 s[28:29], vcc, s[28:29]
	s_andn2_b64 exec, exec, s[28:29]
	s_cbranch_execz .LBB87_2
.LBB87_6:                               ;   Parent Loop BB87_3 Depth=1
                                        ; =>  This Loop Header: Depth=2
                                        ;       Child Loop BB87_8 Depth 3
	s_and_b64 vcc, exec, s[4:5]
	s_cbranch_vccnz .LBB87_5
; %bb.7:                                ;   in Loop: Header=BB87_6 Depth=2
	v_lshl_add_u64 v[6:7], v[4:5], 4, s[26:27]
	v_mov_b64_e32 v[2:3], s[18:19]
	v_mov_b64_e32 v[0:1], s[16:17]
	s_mov_b32 s31, s10
.LBB87_8:                               ;   Parent Loop BB87_3 Depth=1
                                        ;     Parent Loop BB87_6 Depth=2
                                        ; =>    This Inner Loop Header: Depth=3
	v_lshl_add_u64 v[10:11], s[14:15], 0, v[6:7]
	global_load_dwordx4 v[10:13], v[10:11], off offset:-8
	s_add_i32 s31, s31, -1
	v_lshl_add_u64 v[14:15], s[12:13], 0, v[6:7]
	v_lshl_add_u64 v[6:7], v[6:7], 0, s[22:23]
	s_cmp_eq_u32 s31, 0
	s_waitcnt vmcnt(0)
	v_add_f64 v[0:1], v[0:1], v[10:11]
	v_add_f64 v[2:3], v[2:3], v[12:13]
	global_store_dwordx4 v[14:15], v[0:3], off offset:-8
	s_cbranch_scc0 .LBB87_8
	s_branch .LBB87_5
.LBB87_9:
	s_endpgm
	.section	.rodata,"a",@progbits
	.p2align	6, 0x0
	.amdhsa_kernel _ZN2at6native28tensor_kernel_scan_outer_dimIN3c107complexIdEEmSt4plusIS4_EEEvPT_PKS7_jjjS7_T1_
		.amdhsa_group_segment_fixed_size 0
		.amdhsa_private_segment_fixed_size 0
		.amdhsa_kernarg_size 312
		.amdhsa_user_sgpr_count 2
		.amdhsa_user_sgpr_dispatch_ptr 0
		.amdhsa_user_sgpr_queue_ptr 0
		.amdhsa_user_sgpr_kernarg_segment_ptr 1
		.amdhsa_user_sgpr_dispatch_id 0
		.amdhsa_user_sgpr_kernarg_preload_length 0
		.amdhsa_user_sgpr_kernarg_preload_offset 0
		.amdhsa_user_sgpr_private_segment_size 0
		.amdhsa_uses_dynamic_stack 0
		.amdhsa_enable_private_segment 0
		.amdhsa_system_sgpr_workgroup_id_x 1
		.amdhsa_system_sgpr_workgroup_id_y 1
		.amdhsa_system_sgpr_workgroup_id_z 0
		.amdhsa_system_sgpr_workgroup_info 0
		.amdhsa_system_vgpr_workitem_id 0
		.amdhsa_next_free_vgpr 16
		.amdhsa_next_free_sgpr 32
		.amdhsa_accum_offset 16
		.amdhsa_reserve_vcc 1
		.amdhsa_float_round_mode_32 0
		.amdhsa_float_round_mode_16_64 0
		.amdhsa_float_denorm_mode_32 3
		.amdhsa_float_denorm_mode_16_64 3
		.amdhsa_dx10_clamp 1
		.amdhsa_ieee_mode 1
		.amdhsa_fp16_overflow 0
		.amdhsa_tg_split 0
		.amdhsa_exception_fp_ieee_invalid_op 0
		.amdhsa_exception_fp_denorm_src 0
		.amdhsa_exception_fp_ieee_div_zero 0
		.amdhsa_exception_fp_ieee_overflow 0
		.amdhsa_exception_fp_ieee_underflow 0
		.amdhsa_exception_fp_ieee_inexact 0
		.amdhsa_exception_int_div_zero 0
	.end_amdhsa_kernel
	.section	.text._ZN2at6native28tensor_kernel_scan_outer_dimIN3c107complexIdEEmSt4plusIS4_EEEvPT_PKS7_jjjS7_T1_,"axG",@progbits,_ZN2at6native28tensor_kernel_scan_outer_dimIN3c107complexIdEEmSt4plusIS4_EEEvPT_PKS7_jjjS7_T1_,comdat
.Lfunc_end87:
	.size	_ZN2at6native28tensor_kernel_scan_outer_dimIN3c107complexIdEEmSt4plusIS4_EEEvPT_PKS7_jjjS7_T1_, .Lfunc_end87-_ZN2at6native28tensor_kernel_scan_outer_dimIN3c107complexIdEEmSt4plusIS4_EEEvPT_PKS7_jjjS7_T1_
                                        ; -- End function
	.set _ZN2at6native28tensor_kernel_scan_outer_dimIN3c107complexIdEEmSt4plusIS4_EEEvPT_PKS7_jjjS7_T1_.num_vgpr, 16
	.set _ZN2at6native28tensor_kernel_scan_outer_dimIN3c107complexIdEEmSt4plusIS4_EEEvPT_PKS7_jjjS7_T1_.num_agpr, 0
	.set _ZN2at6native28tensor_kernel_scan_outer_dimIN3c107complexIdEEmSt4plusIS4_EEEvPT_PKS7_jjjS7_T1_.numbered_sgpr, 32
	.set _ZN2at6native28tensor_kernel_scan_outer_dimIN3c107complexIdEEmSt4plusIS4_EEEvPT_PKS7_jjjS7_T1_.num_named_barrier, 0
	.set _ZN2at6native28tensor_kernel_scan_outer_dimIN3c107complexIdEEmSt4plusIS4_EEEvPT_PKS7_jjjS7_T1_.private_seg_size, 0
	.set _ZN2at6native28tensor_kernel_scan_outer_dimIN3c107complexIdEEmSt4plusIS4_EEEvPT_PKS7_jjjS7_T1_.uses_vcc, 1
	.set _ZN2at6native28tensor_kernel_scan_outer_dimIN3c107complexIdEEmSt4plusIS4_EEEvPT_PKS7_jjjS7_T1_.uses_flat_scratch, 0
	.set _ZN2at6native28tensor_kernel_scan_outer_dimIN3c107complexIdEEmSt4plusIS4_EEEvPT_PKS7_jjjS7_T1_.has_dyn_sized_stack, 0
	.set _ZN2at6native28tensor_kernel_scan_outer_dimIN3c107complexIdEEmSt4plusIS4_EEEvPT_PKS7_jjjS7_T1_.has_recursion, 0
	.set _ZN2at6native28tensor_kernel_scan_outer_dimIN3c107complexIdEEmSt4plusIS4_EEEvPT_PKS7_jjjS7_T1_.has_indirect_call, 0
	.section	.AMDGPU.csdata,"",@progbits
; Kernel info:
; codeLenInByte = 348
; TotalNumSgprs: 38
; NumVgprs: 16
; NumAgprs: 0
; TotalNumVgprs: 16
; ScratchSize: 0
; MemoryBound: 0
; FloatMode: 240
; IeeeMode: 1
; LDSByteSize: 0 bytes/workgroup (compile time only)
; SGPRBlocks: 4
; VGPRBlocks: 1
; NumSGPRsForWavesPerEU: 38
; NumVGPRsForWavesPerEU: 16
; AccumOffset: 16
; Occupancy: 8
; WaveLimiterHint : 0
; COMPUTE_PGM_RSRC2:SCRATCH_EN: 0
; COMPUTE_PGM_RSRC2:USER_SGPR: 2
; COMPUTE_PGM_RSRC2:TRAP_HANDLER: 0
; COMPUTE_PGM_RSRC2:TGID_X_EN: 1
; COMPUTE_PGM_RSRC2:TGID_Y_EN: 1
; COMPUTE_PGM_RSRC2:TGID_Z_EN: 0
; COMPUTE_PGM_RSRC2:TIDIG_COMP_CNT: 0
; COMPUTE_PGM_RSRC3_GFX90A:ACCUM_OFFSET: 3
; COMPUTE_PGM_RSRC3_GFX90A:TG_SPLIT: 0
	.section	.text._ZN2at4cuda3cub15calc_block_sumsILi256ELi16ELb0EN3c107complexIfEES5_EEvPKT2_PT3_li,"axG",@progbits,_ZN2at4cuda3cub15calc_block_sumsILi256ELi16ELb0EN3c107complexIfEES5_EEvPKT2_PT3_li,comdat
	.protected	_ZN2at4cuda3cub15calc_block_sumsILi256ELi16ELb0EN3c107complexIfEES5_EEvPKT2_PT3_li ; -- Begin function _ZN2at4cuda3cub15calc_block_sumsILi256ELi16ELb0EN3c107complexIfEES5_EEvPKT2_PT3_li
	.globl	_ZN2at4cuda3cub15calc_block_sumsILi256ELi16ELb0EN3c107complexIfEES5_EEvPKT2_PT3_li
	.p2align	8
	.type	_ZN2at4cuda3cub15calc_block_sumsILi256ELi16ELb0EN3c107complexIfEES5_EEvPKT2_PT3_li,@function
_ZN2at4cuda3cub15calc_block_sumsILi256ELi16ELb0EN3c107complexIfEES5_EEvPKT2_PT3_li: ; @_ZN2at4cuda3cub15calc_block_sumsILi256ELi16ELb0EN3c107complexIfEES5_EEvPKT2_PT3_li
; %bb.0:
	s_load_dword s14, s[0:1], 0x18
	s_load_dwordx2 s[4:5], s[0:1], 0x10
	s_waitcnt lgkmcnt(0)
	s_lshl_b32 s3, s14, 12
	s_ashr_i32 s6, s3, 31
	s_mul_hi_u32 s7, s3, s2
	s_mul_i32 s6, s6, s2
	s_add_i32 s11, s7, s6
	s_mul_i32 s10, s3, s2
	s_sub_u32 s8, s4, s10
	s_subb_u32 s9, s5, s11
	v_cmp_lt_i64_e64 s[4:5], s[8:9], 1
	s_and_b64 vcc, exec, s[4:5]
	s_cbranch_vccnz .LBB88_56
; %bb.1:
	s_load_dwordx4 s[4:7], s[0:1], 0x0
	s_cmp_gt_i32 s14, 0
	s_mov_b32 s3, 0
	s_cbranch_scc1 .LBB88_3
; %bb.2:
	s_mov_b64 s[0:1], -1
	v_mov_b32_e32 v3, 0
	v_mov_b32_e32 v2, v3
	s_cbranch_execz .LBB88_4
	s_branch .LBB88_53
.LBB88_3:
	s_mov_b64 s[0:1], 0
	v_mov_b32_e32 v3, 0
	v_mov_b32_e32 v2, v3
.LBB88_4:
	s_lshl_b64 s[10:11], s[10:11], 3
	v_lshrrev_b32_e32 v2, 3, v0
	s_waitcnt lgkmcnt(0)
	s_add_u32 s4, s4, s10
	v_and_b32_e32 v56, 0x78, v2
	v_lshlrev_b32_e32 v2, 3, v0
	v_mov_b32_e32 v3, 0
	s_addc_u32 s5, s5, s11
	v_lshl_add_u64 v[4:5], s[4:5], 0, v[2:3]
	v_mbcnt_lo_u32_b32 v2, -1, 0
	v_add_u32_e32 v1, 0x100, v0
	v_add_u32_e32 v42, 0x200, v0
	v_add_u32_e32 v43, 0x300, v0
	v_or_b32_e32 v44, 0x400, v0
	v_add_u32_e32 v45, 0x500, v0
	v_add_u32_e32 v46, 0x600, v0
	v_add_u32_e32 v47, 0x700, v0
	v_or_b32_e32 v48, 0x800, v0
	;; [unrolled: 4-line block ×3, first 2 shown]
	v_add_u32_e32 v53, 0xd00, v0
	v_add_u32_e32 v54, 0xe00, v0
	;; [unrolled: 1-line block ×3, first 2 shown]
	v_cmp_gt_u32_e64 s[0:1], 64, v0
	v_mov_b64_e32 v[6:7], 0x1000
	s_mov_b64 s[4:5], 0x8000
	v_mbcnt_hi_u32_b32 v57, -1, v2
	v_mov_b64_e32 v[8:9], 0x1001
	v_mov_b32_e32 v2, v3
	s_branch .LBB88_6
.LBB88_5:                               ;   in Loop: Header=BB88_6 Depth=1
	s_andn2_b64 vcc, exec, s[12:13]
	s_cbranch_vccz .LBB88_52
.LBB88_6:                               ; =>This Inner Loop Header: Depth=1
	v_cmp_lt_i64_e32 vcc, s[8:9], v[6:7]
	s_mov_b64 s[10:11], -1
                                        ; implicit-def: $vgpr11
	s_cbranch_vccz .LBB88_44
; %bb.7:                                ;   in Loop: Header=BB88_6 Depth=1
	v_cmp_gt_u32_e32 vcc, s8, v0
	v_mov_b32_e32 v10, 0
	v_mov_b32_e32 v12, 0
	;; [unrolled: 1-line block ×3, first 2 shown]
	s_and_saveexec_b64 s[10:11], vcc
	s_cbranch_execz .LBB88_9
; %bb.8:                                ;   in Loop: Header=BB88_6 Depth=1
	global_load_dwordx2 v[12:13], v[4:5], off
.LBB88_9:                               ;   in Loop: Header=BB88_6 Depth=1
	s_or_b64 exec, exec, s[10:11]
	v_cmp_gt_u32_e32 vcc, s8, v1
	v_mov_b32_e32 v11, 0
	s_and_saveexec_b64 s[10:11], vcc
	s_cbranch_execz .LBB88_11
; %bb.10:                               ;   in Loop: Header=BB88_6 Depth=1
	global_load_dwordx2 v[10:11], v[4:5], off offset:2048
.LBB88_11:                              ;   in Loop: Header=BB88_6 Depth=1
	s_or_b64 exec, exec, s[10:11]
	v_cmp_gt_u32_e32 vcc, s8, v42
	v_mov_b32_e32 v14, 0
	v_mov_b32_e32 v16, 0
	v_mov_b32_e32 v17, 0
	s_and_saveexec_b64 s[10:11], vcc
	s_cbranch_execz .LBB88_13
; %bb.12:                               ;   in Loop: Header=BB88_6 Depth=1
	v_add_co_u32_e32 v16, vcc, 0x1000, v4
	s_nop 1
	v_addc_co_u32_e32 v17, vcc, 0, v5, vcc
	global_load_dwordx2 v[16:17], v[16:17], off
.LBB88_13:                              ;   in Loop: Header=BB88_6 Depth=1
	s_or_b64 exec, exec, s[10:11]
	v_cmp_gt_u32_e32 vcc, s8, v43
	v_mov_b32_e32 v15, 0
	s_and_saveexec_b64 s[10:11], vcc
	s_cbranch_execz .LBB88_15
; %bb.14:                               ;   in Loop: Header=BB88_6 Depth=1
	v_add_co_u32_e32 v14, vcc, 0x1000, v4
	s_nop 1
	v_addc_co_u32_e32 v15, vcc, 0, v5, vcc
	global_load_dwordx2 v[14:15], v[14:15], off offset:2048
.LBB88_15:                              ;   in Loop: Header=BB88_6 Depth=1
	s_or_b64 exec, exec, s[10:11]
	v_cmp_gt_u32_e32 vcc, s8, v44
	v_mov_b32_e32 v18, 0
	v_mov_b32_e32 v20, 0
	v_mov_b32_e32 v21, 0
	s_and_saveexec_b64 s[10:11], vcc
	s_cbranch_execz .LBB88_17
; %bb.16:                               ;   in Loop: Header=BB88_6 Depth=1
	v_add_co_u32_e32 v20, vcc, 0x2000, v4
	s_nop 1
	v_addc_co_u32_e32 v21, vcc, 0, v5, vcc
	global_load_dwordx2 v[20:21], v[20:21], off
.LBB88_17:                              ;   in Loop: Header=BB88_6 Depth=1
	s_or_b64 exec, exec, s[10:11]
	v_cmp_gt_u32_e32 vcc, s8, v45
	v_mov_b32_e32 v19, 0
	s_and_saveexec_b64 s[10:11], vcc
	s_cbranch_execz .LBB88_19
; %bb.18:                               ;   in Loop: Header=BB88_6 Depth=1
	v_add_co_u32_e32 v18, vcc, 0x2000, v4
	s_nop 1
	v_addc_co_u32_e32 v19, vcc, 0, v5, vcc
	global_load_dwordx2 v[18:19], v[18:19], off offset:2048
.LBB88_19:                              ;   in Loop: Header=BB88_6 Depth=1
	;; [unrolled: 24-line block ×7, first 2 shown]
	s_or_b64 exec, exec, s[10:11]
	s_waitcnt vmcnt(0)
	v_pk_add_f32 v[10:11], v[10:11], v[12:13]
	v_cmp_eq_u32_e32 vcc, 0, v57
	v_pk_add_f32 v[10:11], v[10:11], v[16:17]
	s_nop 0
	v_pk_add_f32 v[10:11], v[10:11], v[14:15]
	s_barrier
	v_pk_add_f32 v[10:11], v[10:11], v[20:21]
	s_nop 0
	v_pk_add_f32 v[10:11], v[10:11], v[18:19]
	s_nop 0
	;; [unrolled: 2-line block ×12, first 2 shown]
	v_mov_b32_dpp v12, v10 quad_perm:[1,0,3,2] row_mask:0xf bank_mask:0xf
	v_mov_b32_dpp v13, v11 quad_perm:[1,0,3,2] row_mask:0xf bank_mask:0xf
	v_add_f32_e32 v10, v10, v12
	v_add_f32_e32 v11, v11, v13
	s_nop 0
	v_mov_b32_dpp v12, v10 quad_perm:[2,3,0,1] row_mask:0xf bank_mask:0xf
	v_mov_b32_dpp v13, v11 quad_perm:[2,3,0,1] row_mask:0xf bank_mask:0xf
	v_add_f32_e32 v10, v10, v12
	v_add_f32_e32 v11, v11, v13
	s_nop 0
	v_mov_b32_dpp v12, v10 row_ror:4 row_mask:0xf bank_mask:0xf
	v_mov_b32_dpp v13, v11 row_ror:4 row_mask:0xf bank_mask:0xf
	v_add_f32_e32 v10, v10, v12
	v_add_f32_e32 v11, v11, v13
	s_nop 0
	v_mov_b32_dpp v12, v10 row_ror:8 row_mask:0xf bank_mask:0xf
	v_mov_b32_dpp v13, v11 row_ror:8 row_mask:0xf bank_mask:0xf
	v_add_f32_e32 v10, v10, v12
	v_add_f32_e32 v11, v11, v13
	s_nop 0
	v_mov_b32_dpp v12, v10 row_bcast:15 row_mask:0xf bank_mask:0xf
	v_mov_b32_dpp v13, v11 row_bcast:15 row_mask:0xf bank_mask:0xf
	v_add_f32_e32 v10, v10, v12
	v_add_f32_e32 v11, v11, v13
	s_nop 0
	v_mov_b32_dpp v12, v10 row_bcast:31 row_mask:0xf bank_mask:0xf
	v_mov_b32_dpp v13, v11 row_bcast:31 row_mask:0xf bank_mask:0xf
	v_add_f32_e32 v10, v10, v12
	v_lshlrev_b32_e32 v12, 2, v57
	v_add_f32_e32 v11, v11, v13
	v_or_b32_e32 v13, 0xfc, v12
	ds_bpermute_b32 v10, v13, v10
	ds_bpermute_b32 v11, v13, v11
	s_and_saveexec_b64 s[10:11], vcc
	s_cbranch_execz .LBB88_41
; %bb.40:                               ;   in Loop: Header=BB88_6 Depth=1
	s_waitcnt lgkmcnt(0)
	ds_write_b64 v56, v[10:11]
.LBB88_41:                              ;   in Loop: Header=BB88_6 Depth=1
	s_or_b64 exec, exec, s[10:11]
	s_waitcnt lgkmcnt(0)
	s_barrier
	s_and_saveexec_b64 s[10:11], s[0:1]
	s_cbranch_execz .LBB88_43
; %bb.42:                               ;   in Loop: Header=BB88_6 Depth=1
	v_and_b32_e32 v13, 3, v57
	v_lshlrev_b32_e32 v10, 3, v13
	ds_read_b64 v[10:11], v10
	v_cmp_ne_u32_e32 vcc, 3, v13
	s_nop 1
	v_addc_co_u32_e32 v13, vcc, 0, v57, vcc
	v_lshlrev_b32_e32 v13, 2, v13
	s_waitcnt lgkmcnt(0)
	ds_bpermute_b32 v14, v13, v10
	ds_bpermute_b32 v15, v13, v11
	v_or_b32_e32 v13, 8, v12
	s_waitcnt lgkmcnt(0)
	v_pk_add_f32 v[10:11], v[10:11], v[14:15]
	ds_bpermute_b32 v12, v13, v10
	ds_bpermute_b32 v13, v13, v11
	s_waitcnt lgkmcnt(0)
	v_pk_add_f32 v[10:11], v[10:11], v[12:13]
.LBB88_43:                              ;   in Loop: Header=BB88_6 Depth=1
	s_or_b64 exec, exec, s[10:11]
	s_mov_b64 s[10:11], 0
.LBB88_44:                              ;   in Loop: Header=BB88_6 Depth=1
	s_and_b64 vcc, exec, s[10:11]
	s_cbranch_vccz .LBB88_50
; %bb.45:                               ;   in Loop: Header=BB88_6 Depth=1
	global_load_dwordx2 v[10:11], v[4:5], off
	global_load_dwordx2 v[12:13], v[4:5], off offset:2048
	v_add_co_u32_e32 v14, vcc, 0x1000, v4
	s_waitcnt vmcnt(0)
	v_add_f32_e32 v10, v12, v10
	v_addc_co_u32_e32 v15, vcc, 0, v5, vcc
	v_add_co_u32_e32 v16, vcc, 0x2000, v4
	v_add_f32_e32 v11, v13, v11
	s_nop 0
	v_addc_co_u32_e32 v17, vcc, 0, v5, vcc
	global_load_dwordx2 v[18:19], v[14:15], off
	global_load_dwordx2 v[20:21], v[14:15], off offset:2048
	global_load_dwordx2 v[22:23], v[16:17], off
	global_load_dwordx2 v[24:25], v[16:17], off offset:2048
	v_add_co_u32_e32 v14, vcc, 0x3000, v4
	s_waitcnt vmcnt(3)
	v_add_f32_e32 v10, v10, v18
	v_addc_co_u32_e32 v15, vcc, 0, v5, vcc
	v_add_co_u32_e32 v16, vcc, 0x4000, v4
	v_add_f32_e32 v11, v11, v19
	s_nop 0
	v_addc_co_u32_e32 v17, vcc, 0, v5, vcc
	global_load_dwordx2 v[26:27], v[14:15], off
	global_load_dwordx2 v[28:29], v[14:15], off offset:2048
	;; [unrolled: 12-line block ×3, first 2 shown]
	global_load_dwordx2 v[38:39], v[16:17], off
	global_load_dwordx2 v[40:41], v[16:17], off offset:2048
	v_add_co_u32_e32 v14, vcc, 0x7000, v4
	s_waitcnt vmcnt(9)
	v_add_f32_e32 v10, v10, v22
	v_addc_co_u32_e32 v15, vcc, 0, v5, vcc
	global_load_dwordx2 v[16:17], v[14:15], off
	global_load_dwordx2 v[58:59], v[14:15], off offset:2048
	v_add_f32_e32 v11, v11, v23
	s_waitcnt vmcnt(10)
	v_add_f32_e32 v10, v10, v24
	v_add_f32_e32 v11, v11, v25
	v_lshlrev_b32_e32 v14, 2, v57
	v_or_b32_e32 v15, 0xfc, v14
	v_cmp_eq_u32_e32 vcc, 0, v57
	s_barrier
	s_waitcnt vmcnt(9)
	v_add_f32_e32 v10, v10, v26
	v_add_f32_e32 v11, v11, v27
	s_waitcnt vmcnt(8)
	v_add_f32_e32 v10, v10, v28
	v_add_f32_e32 v11, v11, v29
	;; [unrolled: 3-line block ×10, first 2 shown]
	s_nop 0
	v_mov_b32_dpp v12, v10 quad_perm:[1,0,3,2] row_mask:0xf bank_mask:0xf
	v_mov_b32_dpp v13, v11 quad_perm:[1,0,3,2] row_mask:0xf bank_mask:0xf
	v_add_f32_e32 v10, v10, v12
	v_add_f32_e32 v11, v11, v13
	s_nop 0
	v_mov_b32_dpp v12, v10 quad_perm:[2,3,0,1] row_mask:0xf bank_mask:0xf
	v_mov_b32_dpp v13, v11 quad_perm:[2,3,0,1] row_mask:0xf bank_mask:0xf
	v_add_f32_e32 v10, v10, v12
	v_add_f32_e32 v11, v11, v13
	s_nop 0
	v_mov_b32_dpp v12, v10 row_ror:4 row_mask:0xf bank_mask:0xf
	v_mov_b32_dpp v13, v11 row_ror:4 row_mask:0xf bank_mask:0xf
	v_add_f32_e32 v10, v10, v12
	v_add_f32_e32 v11, v11, v13
	s_nop 0
	v_mov_b32_dpp v12, v10 row_ror:8 row_mask:0xf bank_mask:0xf
	v_mov_b32_dpp v13, v11 row_ror:8 row_mask:0xf bank_mask:0xf
	v_add_f32_e32 v10, v10, v12
	v_add_f32_e32 v11, v11, v13
	s_nop 0
	v_mov_b32_dpp v12, v10 row_bcast:15 row_mask:0xf bank_mask:0xf
	v_mov_b32_dpp v13, v11 row_bcast:15 row_mask:0xf bank_mask:0xf
	v_add_f32_e32 v10, v10, v12
	v_add_f32_e32 v11, v11, v13
	s_nop 0
	v_mov_b32_dpp v12, v10 row_bcast:31 row_mask:0xf bank_mask:0xf
	v_mov_b32_dpp v13, v11 row_bcast:31 row_mask:0xf bank_mask:0xf
	v_add_f32_e32 v10, v10, v12
	v_add_f32_e32 v11, v11, v13
	ds_bpermute_b32 v10, v15, v10
	ds_bpermute_b32 v11, v15, v11
	s_and_saveexec_b64 s[10:11], vcc
	s_cbranch_execz .LBB88_47
; %bb.46:                               ;   in Loop: Header=BB88_6 Depth=1
	s_waitcnt lgkmcnt(0)
	ds_write_b64 v56, v[10:11]
.LBB88_47:                              ;   in Loop: Header=BB88_6 Depth=1
	s_or_b64 exec, exec, s[10:11]
	s_waitcnt lgkmcnt(0)
	s_barrier
	s_and_saveexec_b64 s[10:11], s[0:1]
	s_cbranch_execz .LBB88_49
; %bb.48:                               ;   in Loop: Header=BB88_6 Depth=1
	v_and_b32_e32 v12, 3, v57
	v_lshlrev_b32_e32 v10, 3, v12
	ds_read_b64 v[10:11], v10
	v_cmp_ne_u32_e32 vcc, 3, v12
	v_or_b32_e32 v14, 8, v14
	s_nop 0
	v_addc_co_u32_e32 v12, vcc, 0, v57, vcc
	v_lshlrev_b32_e32 v13, 2, v12
	s_waitcnt lgkmcnt(0)
	ds_bpermute_b32 v12, v13, v10
	ds_bpermute_b32 v13, v13, v11
	s_waitcnt lgkmcnt(0)
	v_pk_add_f32 v[10:11], v[10:11], v[12:13]
	ds_bpermute_b32 v12, v14, v10
	ds_bpermute_b32 v13, v14, v11
	s_waitcnt lgkmcnt(0)
	v_pk_add_f32 v[10:11], v[10:11], v[12:13]
.LBB88_49:                              ;   in Loop: Header=BB88_6 Depth=1
	s_or_b64 exec, exec, s[10:11]
.LBB88_50:                              ;   in Loop: Header=BB88_6 Depth=1
	v_cmp_lt_i64_e32 vcc, s[8:9], v[8:9]
	s_mov_b64 s[10:11], -1
	s_mov_b64 s[12:13], -1
	s_cbranch_vccnz .LBB88_5
; %bb.51:                               ;   in Loop: Header=BB88_6 Depth=1
	s_add_u32 s8, s8, 0xfffff000
	s_addc_u32 s9, s9, -1
	s_add_i32 s14, s14, -1
	s_cmp_eq_u32 s14, 0
	v_pk_add_f32 v[2:3], v[2:3], v[10:11]
	v_lshl_add_u64 v[4:5], v[4:5], 0, s[4:5]
	s_mov_b64 s[10:11], 0
	s_cselect_b64 s[12:13], -1, 0
	s_barrier
	s_branch .LBB88_5
.LBB88_52:
	s_xor_b64 s[0:1], s[10:11], -1
.LBB88_53:
	s_and_b64 vcc, exec, s[0:1]
	s_cbranch_vccz .LBB88_56
; %bb.54:
	v_cmp_eq_u32_e32 vcc, 0, v0
	s_and_saveexec_b64 s[0:1], vcc
	s_cbranch_execz .LBB88_56
; %bb.55:
	s_lshl_b64 s[0:1], s[2:3], 3
	s_waitcnt lgkmcnt(0)
	s_add_u32 s0, s6, s0
	s_addc_u32 s1, s7, s1
	v_mov_b32_e32 v0, 0
	global_store_dwordx2 v0, v[2:3], s[0:1]
.LBB88_56:
	s_endpgm
	.section	.rodata,"a",@progbits
	.p2align	6, 0x0
	.amdhsa_kernel _ZN2at4cuda3cub15calc_block_sumsILi256ELi16ELb0EN3c107complexIfEES5_EEvPKT2_PT3_li
		.amdhsa_group_segment_fixed_size 32
		.amdhsa_private_segment_fixed_size 0
		.amdhsa_kernarg_size 28
		.amdhsa_user_sgpr_count 2
		.amdhsa_user_sgpr_dispatch_ptr 0
		.amdhsa_user_sgpr_queue_ptr 0
		.amdhsa_user_sgpr_kernarg_segment_ptr 1
		.amdhsa_user_sgpr_dispatch_id 0
		.amdhsa_user_sgpr_kernarg_preload_length 0
		.amdhsa_user_sgpr_kernarg_preload_offset 0
		.amdhsa_user_sgpr_private_segment_size 0
		.amdhsa_uses_dynamic_stack 0
		.amdhsa_enable_private_segment 0
		.amdhsa_system_sgpr_workgroup_id_x 1
		.amdhsa_system_sgpr_workgroup_id_y 0
		.amdhsa_system_sgpr_workgroup_id_z 0
		.amdhsa_system_sgpr_workgroup_info 0
		.amdhsa_system_vgpr_workitem_id 0
		.amdhsa_next_free_vgpr 60
		.amdhsa_next_free_sgpr 15
		.amdhsa_accum_offset 60
		.amdhsa_reserve_vcc 1
		.amdhsa_float_round_mode_32 0
		.amdhsa_float_round_mode_16_64 0
		.amdhsa_float_denorm_mode_32 3
		.amdhsa_float_denorm_mode_16_64 3
		.amdhsa_dx10_clamp 1
		.amdhsa_ieee_mode 1
		.amdhsa_fp16_overflow 0
		.amdhsa_tg_split 0
		.amdhsa_exception_fp_ieee_invalid_op 0
		.amdhsa_exception_fp_denorm_src 0
		.amdhsa_exception_fp_ieee_div_zero 0
		.amdhsa_exception_fp_ieee_overflow 0
		.amdhsa_exception_fp_ieee_underflow 0
		.amdhsa_exception_fp_ieee_inexact 0
		.amdhsa_exception_int_div_zero 0
	.end_amdhsa_kernel
	.section	.text._ZN2at4cuda3cub15calc_block_sumsILi256ELi16ELb0EN3c107complexIfEES5_EEvPKT2_PT3_li,"axG",@progbits,_ZN2at4cuda3cub15calc_block_sumsILi256ELi16ELb0EN3c107complexIfEES5_EEvPKT2_PT3_li,comdat
.Lfunc_end88:
	.size	_ZN2at4cuda3cub15calc_block_sumsILi256ELi16ELb0EN3c107complexIfEES5_EEvPKT2_PT3_li, .Lfunc_end88-_ZN2at4cuda3cub15calc_block_sumsILi256ELi16ELb0EN3c107complexIfEES5_EEvPKT2_PT3_li
                                        ; -- End function
	.set _ZN2at4cuda3cub15calc_block_sumsILi256ELi16ELb0EN3c107complexIfEES5_EEvPKT2_PT3_li.num_vgpr, 60
	.set _ZN2at4cuda3cub15calc_block_sumsILi256ELi16ELb0EN3c107complexIfEES5_EEvPKT2_PT3_li.num_agpr, 0
	.set _ZN2at4cuda3cub15calc_block_sumsILi256ELi16ELb0EN3c107complexIfEES5_EEvPKT2_PT3_li.numbered_sgpr, 15
	.set _ZN2at4cuda3cub15calc_block_sumsILi256ELi16ELb0EN3c107complexIfEES5_EEvPKT2_PT3_li.num_named_barrier, 0
	.set _ZN2at4cuda3cub15calc_block_sumsILi256ELi16ELb0EN3c107complexIfEES5_EEvPKT2_PT3_li.private_seg_size, 0
	.set _ZN2at4cuda3cub15calc_block_sumsILi256ELi16ELb0EN3c107complexIfEES5_EEvPKT2_PT3_li.uses_vcc, 1
	.set _ZN2at4cuda3cub15calc_block_sumsILi256ELi16ELb0EN3c107complexIfEES5_EEvPKT2_PT3_li.uses_flat_scratch, 0
	.set _ZN2at4cuda3cub15calc_block_sumsILi256ELi16ELb0EN3c107complexIfEES5_EEvPKT2_PT3_li.has_dyn_sized_stack, 0
	.set _ZN2at4cuda3cub15calc_block_sumsILi256ELi16ELb0EN3c107complexIfEES5_EEvPKT2_PT3_li.has_recursion, 0
	.set _ZN2at4cuda3cub15calc_block_sumsILi256ELi16ELb0EN3c107complexIfEES5_EEvPKT2_PT3_li.has_indirect_call, 0
	.section	.AMDGPU.csdata,"",@progbits
; Kernel info:
; codeLenInByte = 2496
; TotalNumSgprs: 21
; NumVgprs: 60
; NumAgprs: 0
; TotalNumVgprs: 60
; ScratchSize: 0
; MemoryBound: 0
; FloatMode: 240
; IeeeMode: 1
; LDSByteSize: 32 bytes/workgroup (compile time only)
; SGPRBlocks: 2
; VGPRBlocks: 7
; NumSGPRsForWavesPerEU: 21
; NumVGPRsForWavesPerEU: 60
; AccumOffset: 60
; Occupancy: 8
; WaveLimiterHint : 1
; COMPUTE_PGM_RSRC2:SCRATCH_EN: 0
; COMPUTE_PGM_RSRC2:USER_SGPR: 2
; COMPUTE_PGM_RSRC2:TRAP_HANDLER: 0
; COMPUTE_PGM_RSRC2:TGID_X_EN: 1
; COMPUTE_PGM_RSRC2:TGID_Y_EN: 0
; COMPUTE_PGM_RSRC2:TGID_Z_EN: 0
; COMPUTE_PGM_RSRC2:TIDIG_COMP_CNT: 0
; COMPUTE_PGM_RSRC3_GFX90A:ACCUM_OFFSET: 14
; COMPUTE_PGM_RSRC3_GFX90A:TG_SPLIT: 0
	.section	.text._ZN2at4cuda3cub17final_scan_kernelILi256ELi16EN3c107complexIfEEEEvPKT1_PS6_S9_li,"axG",@progbits,_ZN2at4cuda3cub17final_scan_kernelILi256ELi16EN3c107complexIfEEEEvPKT1_PS6_S9_li,comdat
	.protected	_ZN2at4cuda3cub17final_scan_kernelILi256ELi16EN3c107complexIfEEEEvPKT1_PS6_S9_li ; -- Begin function _ZN2at4cuda3cub17final_scan_kernelILi256ELi16EN3c107complexIfEEEEvPKT1_PS6_S9_li
	.globl	_ZN2at4cuda3cub17final_scan_kernelILi256ELi16EN3c107complexIfEEEEvPKT1_PS6_S9_li
	.p2align	8
	.type	_ZN2at4cuda3cub17final_scan_kernelILi256ELi16EN3c107complexIfEEEEvPKT1_PS6_S9_li,@function
_ZN2at4cuda3cub17final_scan_kernelILi256ELi16EN3c107complexIfEEEEvPKT1_PS6_S9_li: ; @_ZN2at4cuda3cub17final_scan_kernelILi256ELi16EN3c107complexIfEEEEvPKT1_PS6_S9_li
; %bb.0:
	s_load_dword s33, s[0:1], 0x20
	s_load_dwordx8 s[36:43], s[0:1], 0x0
	s_waitcnt lgkmcnt(0)
	s_lshl_b32 s3, s33, 12
	s_ashr_i32 s4, s3, 31
	s_mul_hi_u32 s5, s3, s2
	s_mul_i32 s4, s4, s2
	s_add_i32 s29, s5, s4
	s_mul_i32 s28, s3, s2
	s_sub_u32 s30, s42, s28
	s_subb_u32 s31, s43, s29
	v_cmp_lt_i64_e64 s[4:5], s[30:31], 1
	s_and_b64 vcc, exec, s[4:5]
	s_cbranch_vccnz .LBB89_98
; %bb.1:
	v_mov_b32_e32 v2, 0
	v_cmp_gt_u32_e32 vcc, s2, v0
	v_mov_b32_e32 v3, v2
	v_lshlrev_b32_e32 v78, 3, v0
	s_and_saveexec_b64 s[4:5], vcc
	s_cbranch_execz .LBB89_3
; %bb.2:
	global_load_dwordx2 v[2:3], v78, s[40:41]
.LBB89_3:
	s_or_b64 exec, exec, s[4:5]
	s_load_dword s0, s[0:1], 0x34
	s_waitcnt lgkmcnt(0)
	s_and_b32 s3, s0, 0xffff
	v_add_u32_e32 v4, s3, v0
	v_cmp_gt_u32_e32 vcc, s2, v4
	s_and_saveexec_b64 s[0:1], vcc
	s_cbranch_execz .LBB89_7
; %bb.4:
	s_mov_b64 s[4:5], 0
	v_mov_b32_e32 v5, 0
.LBB89_5:                               ; =>This Inner Loop Header: Depth=1
	v_lshl_add_u64 v[6:7], v[4:5], 3, s[40:41]
	global_load_dwordx2 v[6:7], v[6:7], off
	v_add_u32_e32 v4, s3, v4
	v_cmp_le_u32_e32 vcc, s2, v4
	s_or_b64 s[4:5], vcc, s[4:5]
	s_waitcnt vmcnt(0)
	v_pk_add_f32 v[2:3], v[2:3], v[6:7]
	s_andn2_b64 exec, exec, s[4:5]
	s_cbranch_execnz .LBB89_5
; %bb.6:
	s_or_b64 exec, exec, s[4:5]
.LBB89_7:
	s_or_b64 exec, exec, s[0:1]
	s_waitcnt vmcnt(0)
	v_mov_b32_dpp v4, v2 quad_perm:[1,0,3,2] row_mask:0xf bank_mask:0xf
	v_mov_b32_dpp v5, v3 quad_perm:[1,0,3,2] row_mask:0xf bank_mask:0xf
	v_add_f32_e32 v2, v2, v4
	v_add_f32_e32 v3, v3, v5
	v_mbcnt_lo_u32_b32 v1, -1, 0
	v_mov_b32_dpp v4, v2 quad_perm:[2,3,0,1] row_mask:0xf bank_mask:0xf
	v_mov_b32_dpp v5, v3 quad_perm:[2,3,0,1] row_mask:0xf bank_mask:0xf
	v_add_f32_e32 v2, v2, v4
	v_add_f32_e32 v3, v3, v5
	v_mbcnt_hi_u32_b32 v1, -1, v1
	v_mov_b32_dpp v4, v2 row_ror:4 row_mask:0xf bank_mask:0xf
	v_mov_b32_dpp v5, v3 row_ror:4 row_mask:0xf bank_mask:0xf
	v_add_f32_e32 v2, v2, v4
	v_add_f32_e32 v3, v3, v5
	v_cmp_eq_u32_e64 s[0:1], 0, v1
	v_mov_b32_dpp v4, v2 row_ror:8 row_mask:0xf bank_mask:0xf
	v_mov_b32_dpp v5, v3 row_ror:8 row_mask:0xf bank_mask:0xf
	v_add_f32_e32 v2, v2, v4
	v_add_f32_e32 v3, v3, v5
	s_nop 0
	v_mov_b32_dpp v4, v2 row_bcast:15 row_mask:0xf bank_mask:0xf
	v_mov_b32_dpp v5, v3 row_bcast:15 row_mask:0xf bank_mask:0xf
	v_add_f32_e32 v2, v2, v4
	v_add_f32_e32 v3, v3, v5
	s_nop 0
	v_mov_b32_dpp v4, v2 row_bcast:31 row_mask:0xf bank_mask:0xf
	v_mov_b32_dpp v5, v3 row_bcast:31 row_mask:0xf bank_mask:0xf
	v_add_f32_e32 v2, v2, v4
	v_add_f32_e32 v4, v3, v5
	v_lshlrev_b32_e32 v3, 2, v1
	v_or_b32_e32 v5, 0xfc, v3
	ds_bpermute_b32 v32, v5, v2
	ds_bpermute_b32 v33, v5, v4
	s_and_saveexec_b64 s[2:3], s[0:1]
	s_cbranch_execz .LBB89_9
; %bb.8:
	v_lshrrev_b32_e32 v2, 3, v0
	v_and_b32_e32 v2, 0x78, v2
	s_waitcnt lgkmcnt(0)
	ds_write_b64 v2, v[32:33]
.LBB89_9:
	s_or_b64 exec, exec, s[2:3]
	v_cmp_lt_u32_e64 s[2:3], 63, v0
	v_cmp_gt_u32_e64 s[4:5], 64, v0
	v_and_b32_e32 v2, 3, v1
	s_waitcnt lgkmcnt(0)
	s_barrier
	s_and_saveexec_b64 s[6:7], s[4:5]
	s_cbranch_execz .LBB89_11
; %bb.10:
	v_lshlrev_b32_e32 v4, 3, v2
	ds_read_b64 v[4:5], v4
	v_cmp_ne_u32_e32 vcc, 3, v2
	v_or_b32_e32 v3, 8, v3
	s_nop 0
	v_addc_co_u32_e32 v6, vcc, 0, v1, vcc
	v_lshlrev_b32_e32 v7, 2, v6
	s_waitcnt lgkmcnt(0)
	ds_bpermute_b32 v6, v7, v4
	ds_bpermute_b32 v7, v7, v5
	s_waitcnt lgkmcnt(0)
	v_pk_add_f32 v[4:5], v[4:5], v[6:7]
	ds_bpermute_b32 v6, v3, v4
	ds_bpermute_b32 v7, v3, v5
	s_waitcnt lgkmcnt(0)
	v_pk_add_f32 v[32:33], v[4:5], v[6:7]
.LBB89_11:
	s_or_b64 exec, exec, s[6:7]
	s_cmp_gt_i32 s33, 0
	s_barrier
	s_cbranch_scc0 .LBB89_98
; %bb.12:
	v_lshlrev_b32_e32 v3, 4, v0
	s_movk_i32 s6, 0x3c00
	v_and_or_b32 v79, v3, s6, v1
	v_lshrrev_b32_e32 v3, 2, v79
	v_add_u32_e32 v80, 64, v79
	v_and_b32_e32 v3, 0xf18, v3
	v_lshlrev_b32_e32 v4, 3, v79
	v_add_u32_e32 v95, v3, v4
	v_lshrrev_b32_e32 v3, 2, v80
	v_or_b32_e32 v81, 0x80, v79
	v_and_b32_e32 v3, 0xf38, v3
	v_add_u32_e32 v96, v3, v4
	v_lshrrev_b32_e32 v3, 2, v81
	v_add_u32_e32 v82, 0xc0, v79
	v_and_b32_e32 v3, 0xf38, v3
	v_add_u32_e32 v97, v3, v4
	v_lshrrev_b32_e32 v3, 2, v82
	v_or_b32_e32 v83, 0x100, v79
	v_and_b32_e32 v3, 0xf78, v3
	v_add_u32_e32 v98, v3, v4
	v_lshrrev_b32_e32 v3, 2, v83
	v_add_u32_e32 v84, 0x140, v79
	v_and_b32_e32 v3, 0xf58, v3
	;; [unrolled: 8-line block ×7, first 2 shown]
	v_add_u32_e32 v109, v3, v4
	v_lshrrev_b32_e32 v3, 2, v94
	v_and_b32_e32 v3, 0x1ff8, v3
	v_add_u32_e32 v110, v3, v4
	v_and_b32_e32 v3, 0x3c0, v0
	v_add_u32_e32 v4, v1, v3
	v_lshlrev_b32_e32 v5, 4, v4
	v_bfe_u32 v4, v4, 1, 27
	v_min_u32_e32 v3, 0xc0, v3
	v_add_lshl_u32 v111, v4, v5, 3
	v_and_b32_e32 v4, 15, v1
	v_or_b32_e32 v3, 63, v3
	v_cmp_eq_u32_e64 s[6:7], 0, v4
	v_cmp_lt_u32_e64 s[8:9], 1, v4
	v_cmp_lt_u32_e64 s[10:11], 3, v4
	;; [unrolled: 1-line block ×3, first 2 shown]
	v_and_b32_e32 v4, 16, v1
	v_cmp_eq_u32_e64 s[18:19], v0, v3
	v_cmp_eq_u32_e64 s[22:23], 0, v2
	v_cmp_lt_u32_e64 s[24:25], 1, v2
	v_add_u32_e32 v2, -1, v1
	v_and_b32_e32 v3, 64, v1
	v_cmp_eq_u32_e64 s[14:15], 0, v4
	v_lshrrev_b32_e32 v4, 6, v0
	v_cmp_lt_i32_e32 vcc, v2, v3
	v_mov_b32_e32 v35, 0
	v_cmp_lt_u32_e64 s[16:17], 31, v1
	v_cmp_gt_u32_e64 s[20:21], 4, v0
	v_cndmask_b32_e32 v2, v2, v1, vcc
	v_cmp_eq_u32_e64 s[26:27], 0, v0
	v_lshlrev_b32_e32 v34, 3, v1
	v_lshlrev_b32_e32 v0, 13, v4
	v_mov_b32_e32 v1, v35
	v_lshlrev_b32_e32 v112, 3, v4
	v_lshl_add_u64 v[0:1], s[28:29], 3, v[0:1]
	v_add_u32_e32 v113, -8, v112
	v_lshlrev_b32_e32 v114, 2, v2
	v_lshl_add_u64 v[36:37], s[36:37], 0, v[0:1]
	v_lshl_add_u64 v[38:39], s[38:39], 0, v[0:1]
	v_mov_b64_e32 v[40:41], 0x1000
	v_mov_b64_e32 v[42:43], 0xfff
	s_mov_b64 s[34:35], 0x8000
	v_mov_b64_e32 v[44:45], 0x1001
	s_branch .LBB89_14
.LBB89_13:                              ;   in Loop: Header=BB89_14 Depth=1
	s_andn2_b64 vcc, exec, s[28:29]
	s_cbranch_vccz .LBB89_98
.LBB89_14:                              ; =>This Inner Loop Header: Depth=1
	v_cmp_gt_i64_e32 vcc, s[30:31], v[42:43]
	s_mov_b64 s[36:37], -1
	v_cmp_gt_u32_e64 s[28:29], s30, v79
	s_cbranch_vccnz .LBB89_48
; %bb.15:                               ;   in Loop: Header=BB89_14 Depth=1
	v_lshl_add_u64 v[8:9], v[36:37], 0, v[34:35]
	v_mov_b32_e32 v0, 0
	v_mov_b32_e32 v2, 0
	;; [unrolled: 1-line block ×3, first 2 shown]
	s_and_saveexec_b64 s[36:37], s[28:29]
	s_cbranch_execz .LBB89_17
; %bb.16:                               ;   in Loop: Header=BB89_14 Depth=1
	global_load_dwordx2 v[2:3], v[8:9], off
.LBB89_17:                              ;   in Loop: Header=BB89_14 Depth=1
	s_or_b64 exec, exec, s[36:37]
	v_cmp_gt_u32_e32 vcc, s30, v80
	v_mov_b32_e32 v1, 0
	s_and_saveexec_b64 s[28:29], vcc
	s_cbranch_execz .LBB89_19
; %bb.18:                               ;   in Loop: Header=BB89_14 Depth=1
	global_load_dwordx2 v[0:1], v[8:9], off offset:512
.LBB89_19:                              ;   in Loop: Header=BB89_14 Depth=1
	s_or_b64 exec, exec, s[28:29]
	v_cmp_gt_u32_e32 vcc, s30, v81
	v_mov_b32_e32 v4, 0
	v_mov_b32_e32 v6, 0
	v_mov_b32_e32 v7, 0
	s_and_saveexec_b64 s[28:29], vcc
	s_cbranch_execz .LBB89_21
; %bb.20:                               ;   in Loop: Header=BB89_14 Depth=1
	global_load_dwordx2 v[6:7], v[8:9], off offset:1024
.LBB89_21:                              ;   in Loop: Header=BB89_14 Depth=1
	s_or_b64 exec, exec, s[28:29]
	v_cmp_gt_u32_e32 vcc, s30, v82
	v_mov_b32_e32 v5, 0
	s_and_saveexec_b64 s[28:29], vcc
	s_cbranch_execz .LBB89_23
; %bb.22:                               ;   in Loop: Header=BB89_14 Depth=1
	global_load_dwordx2 v[4:5], v[8:9], off offset:1536
.LBB89_23:                              ;   in Loop: Header=BB89_14 Depth=1
	s_or_b64 exec, exec, s[28:29]
	v_cmp_gt_u32_e32 vcc, s30, v83
	v_mov_b32_e32 v10, 0
	v_mov_b32_e32 v12, 0
	v_mov_b32_e32 v13, 0
	s_and_saveexec_b64 s[28:29], vcc
	s_cbranch_execz .LBB89_25
; %bb.24:                               ;   in Loop: Header=BB89_14 Depth=1
	global_load_dwordx2 v[12:13], v[8:9], off offset:2048
.LBB89_25:                              ;   in Loop: Header=BB89_14 Depth=1
	s_or_b64 exec, exec, s[28:29]
	v_cmp_gt_u32_e32 vcc, s30, v84
	v_mov_b32_e32 v11, 0
	s_and_saveexec_b64 s[28:29], vcc
	s_cbranch_execz .LBB89_27
; %bb.26:                               ;   in Loop: Header=BB89_14 Depth=1
	global_load_dwordx2 v[10:11], v[8:9], off offset:2560
.LBB89_27:                              ;   in Loop: Header=BB89_14 Depth=1
	s_or_b64 exec, exec, s[28:29]
	v_cmp_gt_u32_e32 vcc, s30, v85
	v_mov_b32_e32 v14, 0
	v_mov_b32_e32 v16, 0
	v_mov_b32_e32 v17, 0
	s_and_saveexec_b64 s[28:29], vcc
	s_cbranch_execz .LBB89_29
; %bb.28:                               ;   in Loop: Header=BB89_14 Depth=1
	global_load_dwordx2 v[16:17], v[8:9], off offset:3072
.LBB89_29:                              ;   in Loop: Header=BB89_14 Depth=1
	s_or_b64 exec, exec, s[28:29]
	v_cmp_gt_u32_e32 vcc, s30, v86
	v_mov_b32_e32 v15, 0
	s_and_saveexec_b64 s[28:29], vcc
	s_cbranch_execz .LBB89_31
; %bb.30:                               ;   in Loop: Header=BB89_14 Depth=1
	global_load_dwordx2 v[14:15], v[8:9], off offset:3584
.LBB89_31:                              ;   in Loop: Header=BB89_14 Depth=1
	s_or_b64 exec, exec, s[28:29]
	v_cmp_gt_u32_e32 vcc, s30, v87
	v_mov_b32_e32 v18, 0
	v_mov_b32_e32 v20, 0
	v_mov_b32_e32 v21, 0
	s_and_saveexec_b64 s[28:29], vcc
	s_cbranch_execz .LBB89_33
; %bb.32:                               ;   in Loop: Header=BB89_14 Depth=1
	v_add_co_u32_e32 v20, vcc, 0x1000, v8
	s_nop 1
	v_addc_co_u32_e32 v21, vcc, 0, v9, vcc
	global_load_dwordx2 v[20:21], v[20:21], off
.LBB89_33:                              ;   in Loop: Header=BB89_14 Depth=1
	s_or_b64 exec, exec, s[28:29]
	v_cmp_gt_u32_e32 vcc, s30, v88
	v_mov_b32_e32 v19, 0
	s_and_saveexec_b64 s[28:29], vcc
	s_cbranch_execz .LBB89_35
; %bb.34:                               ;   in Loop: Header=BB89_14 Depth=1
	v_add_co_u32_e32 v18, vcc, 0x1000, v8
	s_nop 1
	v_addc_co_u32_e32 v19, vcc, 0, v9, vcc
	global_load_dwordx2 v[18:19], v[18:19], off offset:512
.LBB89_35:                              ;   in Loop: Header=BB89_14 Depth=1
	s_or_b64 exec, exec, s[28:29]
	v_cmp_gt_u32_e32 vcc, s30, v89
	v_mov_b32_e32 v22, 0
	v_mov_b32_e32 v24, 0
	;; [unrolled: 1-line block ×3, first 2 shown]
	s_and_saveexec_b64 s[28:29], vcc
	s_cbranch_execz .LBB89_37
; %bb.36:                               ;   in Loop: Header=BB89_14 Depth=1
	v_add_co_u32_e32 v24, vcc, 0x1000, v8
	s_nop 1
	v_addc_co_u32_e32 v25, vcc, 0, v9, vcc
	global_load_dwordx2 v[24:25], v[24:25], off offset:1024
.LBB89_37:                              ;   in Loop: Header=BB89_14 Depth=1
	s_or_b64 exec, exec, s[28:29]
	v_cmp_gt_u32_e32 vcc, s30, v90
	v_mov_b32_e32 v23, 0
	s_and_saveexec_b64 s[28:29], vcc
	s_cbranch_execz .LBB89_39
; %bb.38:                               ;   in Loop: Header=BB89_14 Depth=1
	v_add_co_u32_e32 v22, vcc, 0x1000, v8
	s_nop 1
	v_addc_co_u32_e32 v23, vcc, 0, v9, vcc
	global_load_dwordx2 v[22:23], v[22:23], off offset:1536
.LBB89_39:                              ;   in Loop: Header=BB89_14 Depth=1
	s_or_b64 exec, exec, s[28:29]
	v_cmp_gt_u32_e32 vcc, s30, v91
	s_waitcnt lgkmcnt(0)
	v_mov_b32_e32 v26, 0
	v_mov_b32_e32 v28, 0
	;; [unrolled: 1-line block ×3, first 2 shown]
	s_and_saveexec_b64 s[28:29], vcc
	s_cbranch_execz .LBB89_41
; %bb.40:                               ;   in Loop: Header=BB89_14 Depth=1
	v_add_co_u32_e32 v28, vcc, 0x1000, v8
	s_nop 1
	v_addc_co_u32_e32 v29, vcc, 0, v9, vcc
	global_load_dwordx2 v[28:29], v[28:29], off offset:2048
.LBB89_41:                              ;   in Loop: Header=BB89_14 Depth=1
	s_or_b64 exec, exec, s[28:29]
	v_cmp_gt_u32_e32 vcc, s30, v92
	v_mov_b32_e32 v27, 0
	s_and_saveexec_b64 s[28:29], vcc
	s_cbranch_execz .LBB89_43
; %bb.42:                               ;   in Loop: Header=BB89_14 Depth=1
	v_add_co_u32_e32 v26, vcc, 0x1000, v8
	s_nop 1
	v_addc_co_u32_e32 v27, vcc, 0, v9, vcc
	global_load_dwordx2 v[26:27], v[26:27], off offset:2560
.LBB89_43:                              ;   in Loop: Header=BB89_14 Depth=1
	s_or_b64 exec, exec, s[28:29]
	v_cmp_gt_u32_e32 vcc, s30, v93
	v_mov_b32_e32 v30, 0
	v_mov_b32_e32 v46, 0
	;; [unrolled: 1-line block ×3, first 2 shown]
	s_and_saveexec_b64 s[28:29], vcc
	s_cbranch_execz .LBB89_45
; %bb.44:                               ;   in Loop: Header=BB89_14 Depth=1
	v_add_co_u32_e32 v46, vcc, 0x1000, v8
	s_nop 1
	v_addc_co_u32_e32 v47, vcc, 0, v9, vcc
	global_load_dwordx2 v[46:47], v[46:47], off offset:3072
.LBB89_45:                              ;   in Loop: Header=BB89_14 Depth=1
	s_or_b64 exec, exec, s[28:29]
	v_cmp_gt_u32_e32 vcc, s30, v94
	v_mov_b32_e32 v31, 0
	s_and_saveexec_b64 s[28:29], vcc
	s_cbranch_execz .LBB89_47
; %bb.46:                               ;   in Loop: Header=BB89_14 Depth=1
	v_add_co_u32_e32 v8, vcc, 0x1000, v8
	s_nop 1
	v_addc_co_u32_e32 v9, vcc, 0, v9, vcc
	global_load_dwordx2 v[30:31], v[8:9], off offset:3584
.LBB89_47:                              ;   in Loop: Header=BB89_14 Depth=1
	s_or_b64 exec, exec, s[28:29]
	s_mov_b64 s[36:37], 0
	s_waitcnt vmcnt(0)
	ds_write_b64 v95, v[2:3]
	ds_write_b64 v96, v[0:1] offset:512
	ds_write_b64 v97, v[6:7] offset:1024
	;; [unrolled: 1-line block ×15, first 2 shown]
	; wave barrier
.LBB89_48:                              ;   in Loop: Header=BB89_14 Depth=1
	s_and_b64 vcc, exec, s[36:37]
	s_cbranch_vccz .LBB89_50
; %bb.49:                               ;   in Loop: Header=BB89_14 Depth=1
	v_lshl_add_u64 v[0:1], v[36:37], 0, v[34:35]
	global_load_dwordx2 v[2:3], v[0:1], off
	global_load_dwordx2 v[4:5], v[0:1], off offset:512
	global_load_dwordx2 v[6:7], v[0:1], off offset:1024
	;; [unrolled: 1-line block ×7, first 2 shown]
	v_add_co_u32_e32 v0, vcc, 0x1000, v0
	s_nop 1
	v_addc_co_u32_e32 v1, vcc, 0, v1, vcc
	global_load_dwordx2 v[18:19], v[0:1], off
	global_load_dwordx2 v[20:21], v[0:1], off offset:512
	global_load_dwordx2 v[22:23], v[0:1], off offset:1024
	;; [unrolled: 1-line block ×3, first 2 shown]
	s_waitcnt lgkmcnt(0)
	global_load_dwordx2 v[26:27], v[0:1], off offset:2048
	global_load_dwordx2 v[28:29], v[0:1], off offset:2560
	;; [unrolled: 1-line block ×3, first 2 shown]
	s_nop 0
	global_load_dwordx2 v[0:1], v[0:1], off offset:3584
	s_waitcnt vmcnt(15)
	ds_write_b64 v95, v[2:3]
	s_waitcnt vmcnt(14)
	ds_write_b64 v96, v[4:5] offset:512
	s_waitcnt vmcnt(13)
	ds_write_b64 v97, v[6:7] offset:1024
	;; [unrolled: 2-line block ×15, first 2 shown]
	; wave barrier
.LBB89_50:                              ;   in Loop: Header=BB89_14 Depth=1
	ds_read2_b64 v[0:3], v111 offset0:14 offset1:15
	ds_read2_b64 v[4:7], v111 offset0:12 offset1:13
	;; [unrolled: 1-line block ×5, first 2 shown]
	ds_read2_b64 v[28:31], v111 offset1:1
	ds_read2_b64 v[16:19], v111 offset0:6 offset1:7
	s_waitcnt lgkmcnt(7)
	ds_read2_b64 v[24:27], v111 offset0:4 offset1:5
	s_waitcnt lgkmcnt(0)
	s_barrier
	v_pk_add_f32 v[46:47], v[30:31], v[28:29]
	s_nop 0
	v_pk_add_f32 v[46:47], v[46:47], v[20:21]
	s_nop 0
	;; [unrolled: 2-line block ×15, first 2 shown]
	v_mov_b32_dpp v48, v46 row_shr:1 row_mask:0xf bank_mask:0xf
	v_mov_b32_dpp v49, v47 row_shr:1 row_mask:0xf bank_mask:0xf
	v_pk_add_f32 v[48:49], v[46:47], v[48:49]
	s_nop 0
	v_cndmask_b32_e64 v47, v49, v47, s[6:7]
	v_cndmask_b32_e64 v46, v48, v46, s[6:7]
	s_nop 0
	v_mov_b32_dpp v49, v47 row_shr:2 row_mask:0xf bank_mask:0xf
	v_mov_b32_dpp v48, v46 row_shr:2 row_mask:0xf bank_mask:0xf
	v_pk_add_f32 v[48:49], v[46:47], v[48:49]
	s_nop 0
	v_cndmask_b32_e64 v47, v47, v49, s[8:9]
	v_cndmask_b32_e64 v46, v46, v48, s[8:9]
	s_nop 0
	v_mov_b32_dpp v49, v47 row_shr:4 row_mask:0xf bank_mask:0xf
	v_mov_b32_dpp v48, v46 row_shr:4 row_mask:0xf bank_mask:0xf
	v_pk_add_f32 v[48:49], v[46:47], v[48:49]
	s_nop 0
	v_cndmask_b32_e64 v47, v47, v49, s[10:11]
	v_cndmask_b32_e64 v46, v46, v48, s[10:11]
	s_nop 0
	v_mov_b32_dpp v49, v47 row_shr:8 row_mask:0xf bank_mask:0xf
	v_mov_b32_dpp v48, v46 row_shr:8 row_mask:0xf bank_mask:0xf
	v_pk_add_f32 v[48:49], v[46:47], v[48:49]
	s_nop 0
	v_cndmask_b32_e64 v47, v47, v49, s[12:13]
	v_cndmask_b32_e64 v46, v46, v48, s[12:13]
	s_nop 0
	v_mov_b32_dpp v49, v47 row_bcast:15 row_mask:0xf bank_mask:0xf
	v_mov_b32_dpp v48, v46 row_bcast:15 row_mask:0xf bank_mask:0xf
	v_pk_add_f32 v[48:49], v[46:47], v[48:49]
	s_nop 0
	v_cndmask_b32_e64 v47, v49, v47, s[14:15]
	v_cndmask_b32_e64 v46, v48, v46, s[14:15]
	s_nop 0
	v_mov_b32_dpp v49, v47 row_bcast:31 row_mask:0xf bank_mask:0xf
	v_mov_b32_dpp v48, v46 row_bcast:31 row_mask:0xf bank_mask:0xf
	v_pk_add_f32 v[48:49], v[46:47], v[48:49]
	s_nop 0
	v_cndmask_b32_e64 v47, v47, v49, s[16:17]
	v_cndmask_b32_e64 v46, v46, v48, s[16:17]
	s_and_saveexec_b64 s[28:29], s[18:19]
; %bb.51:                               ;   in Loop: Header=BB89_14 Depth=1
	ds_write_b64 v112, v[46:47]
; %bb.52:                               ;   in Loop: Header=BB89_14 Depth=1
	s_or_b64 exec, exec, s[28:29]
	s_waitcnt lgkmcnt(0)
	s_barrier
	s_and_saveexec_b64 s[28:29], s[20:21]
	s_cbranch_execz .LBB89_54
; %bb.53:                               ;   in Loop: Header=BB89_14 Depth=1
	ds_read_b64 v[48:49], v78
	s_waitcnt lgkmcnt(0)
	s_nop 0
	v_mov_b32_dpp v50, v48 row_shr:1 row_mask:0xf bank_mask:0xf
	v_mov_b32_dpp v51, v49 row_shr:1 row_mask:0xf bank_mask:0xf
	v_pk_add_f32 v[50:51], v[48:49], v[50:51]
	s_nop 0
	v_cndmask_b32_e64 v49, v51, v49, s[22:23]
	v_cndmask_b32_e64 v48, v50, v48, s[22:23]
	s_nop 0
	v_mov_b32_dpp v51, v49 row_shr:2 row_mask:0xf bank_mask:0xf
	v_mov_b32_dpp v50, v48 row_shr:2 row_mask:0xf bank_mask:0xf
	v_pk_add_f32 v[50:51], v[48:49], v[50:51]
	s_nop 0
	v_cndmask_b32_e64 v49, v49, v51, s[24:25]
	v_cndmask_b32_e64 v48, v48, v50, s[24:25]
	ds_write_b64 v78, v[48:49]
.LBB89_54:                              ;   in Loop: Header=BB89_14 Depth=1
	s_or_b64 exec, exec, s[28:29]
	v_mov_b32_e32 v48, 0
	v_mov_b32_e32 v49, 0
	s_waitcnt lgkmcnt(0)
	s_barrier
	s_and_saveexec_b64 s[28:29], s[2:3]
	s_cbranch_execz .LBB89_56
; %bb.55:                               ;   in Loop: Header=BB89_14 Depth=1
	ds_read_b64 v[48:49], v113
	s_waitcnt lgkmcnt(0)
	v_pk_add_f32 v[46:47], v[46:47], v[48:49]
.LBB89_56:                              ;   in Loop: Header=BB89_14 Depth=1
	s_or_b64 exec, exec, s[28:29]
	ds_bpermute_b32 v51, v114, v46
	ds_bpermute_b32 v50, v114, v47
	s_and_saveexec_b64 s[28:29], s[4:5]
	s_cbranch_execz .LBB89_60
; %bb.57:                               ;   in Loop: Header=BB89_14 Depth=1
	ds_read_b64 v[46:47], v35 offset:24
	s_and_saveexec_b64 s[36:37], s[26:27]
; %bb.58:                               ;   in Loop: Header=BB89_14 Depth=1
	ds_write_b64 v35, v[32:33] offset:24
; %bb.59:                               ;   in Loop: Header=BB89_14 Depth=1
	s_or_b64 exec, exec, s[36:37]
	s_waitcnt lgkmcnt(0)
	v_pk_add_f32 v[32:33], v[32:33], v[46:47]
.LBB89_60:                              ;   in Loop: Header=BB89_14 Depth=1
	s_or_b64 exec, exec, s[28:29]
	s_waitcnt lgkmcnt(0)
	s_barrier
	ds_read_b64 v[52:53], v35 offset:24
	v_cndmask_b32_e64 v46, v51, v48, s[0:1]
	v_cndmask_b32_e64 v47, v50, v49, s[0:1]
	v_pk_add_f32 v[46:47], v[28:29], v[46:47]
	v_cmp_lt_i64_e32 vcc, s[30:31], v[40:41]
	v_cndmask_b32_e64 v29, v47, v29, s[26:27]
	v_cndmask_b32_e64 v28, v46, v28, s[26:27]
	s_waitcnt lgkmcnt(0)
	v_pk_add_f32 v[46:47], v[52:53], v[28:29]
	s_and_b64 vcc, exec, vcc
	v_pk_add_f32 v[48:49], v[30:31], v[46:47]
	s_nop 0
	v_pk_add_f32 v[28:29], v[20:21], v[48:49]
	s_barrier
	v_pk_add_f32 v[30:31], v[22:23], v[28:29]
	s_nop 0
	v_pk_add_f32 v[22:23], v[24:25], v[30:31]
	s_nop 0
	v_pk_add_f32 v[24:25], v[26:27], v[22:23]
	s_nop 0
	v_pk_add_f32 v[20:21], v[16:17], v[24:25]
	s_nop 0
	v_pk_add_f32 v[18:19], v[18:19], v[20:21]
	s_nop 0
	v_pk_add_f32 v[16:17], v[12:13], v[18:19]
	s_nop 0
	v_pk_add_f32 v[14:15], v[14:15], v[16:17]
	s_nop 0
	v_pk_add_f32 v[12:13], v[8:9], v[14:15]
	s_nop 0
	v_pk_add_f32 v[10:11], v[10:11], v[12:13]
	s_nop 0
	v_pk_add_f32 v[8:9], v[4:5], v[10:11]
	s_nop 0
	v_pk_add_f32 v[6:7], v[6:7], v[8:9]
	s_nop 0
	v_pk_add_f32 v[4:5], v[0:1], v[6:7]
	v_lshl_add_u64 v[0:1], v[38:39], 0, v[34:35]
	v_pk_add_f32 v[2:3], v[2:3], v[4:5]
	s_cbranch_vccz .LBB89_83
; %bb.61:                               ;   in Loop: Header=BB89_14 Depth=1
	ds_write2_b64 v111, v[46:47], v[48:49] offset1:1
	ds_write2_b64 v111, v[28:29], v[30:31] offset0:2 offset1:3
	ds_write2_b64 v111, v[22:23], v[24:25] offset0:4 offset1:5
	;; [unrolled: 1-line block ×7, first 2 shown]
	; wave barrier
	ds_read_b64 v[76:77], v96 offset:512
	ds_read_b64 v[74:75], v97 offset:1024
	ds_read_b64 v[72:73], v98 offset:1536
	ds_read_b64 v[70:71], v99 offset:2048
	ds_read_b64 v[68:69], v100 offset:2560
	ds_read_b64 v[66:67], v101 offset:3072
	ds_read_b64 v[64:65], v102 offset:3584
	ds_read_b64 v[62:63], v103 offset:4096
	ds_read_b64 v[60:61], v104 offset:4608
	ds_read_b64 v[58:59], v105 offset:5120
	ds_read_b64 v[56:57], v106 offset:5632
	ds_read_b64 v[54:55], v107 offset:6144
	ds_read_b64 v[52:53], v108 offset:6656
	ds_read_b64 v[50:51], v109 offset:7168
	ds_read_b64 v[26:27], v110 offset:7680
	v_cmp_gt_u32_e32 vcc, s30, v79
	s_and_saveexec_b64 s[28:29], vcc
	s_cbranch_execnz .LBB89_84
; %bb.62:                               ;   in Loop: Header=BB89_14 Depth=1
	s_or_b64 exec, exec, s[28:29]
	v_cmp_gt_u32_e32 vcc, s30, v80
	s_and_saveexec_b64 s[28:29], vcc
	s_cbranch_execnz .LBB89_85
.LBB89_63:                              ;   in Loop: Header=BB89_14 Depth=1
	s_or_b64 exec, exec, s[28:29]
	v_cmp_gt_u32_e32 vcc, s30, v81
	s_and_saveexec_b64 s[28:29], vcc
	s_cbranch_execnz .LBB89_86
.LBB89_64:                              ;   in Loop: Header=BB89_14 Depth=1
	s_or_b64 exec, exec, s[28:29]
	v_cmp_gt_u32_e32 vcc, s30, v82
	s_and_saveexec_b64 s[28:29], vcc
	s_cbranch_execnz .LBB89_87
.LBB89_65:                              ;   in Loop: Header=BB89_14 Depth=1
	s_or_b64 exec, exec, s[28:29]
	v_cmp_gt_u32_e32 vcc, s30, v83
	s_and_saveexec_b64 s[28:29], vcc
	s_cbranch_execnz .LBB89_88
.LBB89_66:                              ;   in Loop: Header=BB89_14 Depth=1
	s_or_b64 exec, exec, s[28:29]
	v_cmp_gt_u32_e32 vcc, s30, v84
	s_and_saveexec_b64 s[28:29], vcc
	s_cbranch_execnz .LBB89_89
.LBB89_67:                              ;   in Loop: Header=BB89_14 Depth=1
	s_or_b64 exec, exec, s[28:29]
	v_cmp_gt_u32_e32 vcc, s30, v85
	s_and_saveexec_b64 s[28:29], vcc
	s_cbranch_execnz .LBB89_90
.LBB89_68:                              ;   in Loop: Header=BB89_14 Depth=1
	s_or_b64 exec, exec, s[28:29]
	v_cmp_gt_u32_e32 vcc, s30, v86
	s_and_saveexec_b64 s[28:29], vcc
	s_cbranch_execnz .LBB89_91
.LBB89_69:                              ;   in Loop: Header=BB89_14 Depth=1
	s_or_b64 exec, exec, s[28:29]
	v_cmp_gt_u32_e32 vcc, s30, v87
	s_and_saveexec_b64 s[28:29], vcc
	s_cbranch_execnz .LBB89_92
.LBB89_70:                              ;   in Loop: Header=BB89_14 Depth=1
	s_or_b64 exec, exec, s[28:29]
	v_cmp_gt_u32_e32 vcc, s30, v88
	s_and_saveexec_b64 s[28:29], vcc
	s_cbranch_execnz .LBB89_93
.LBB89_71:                              ;   in Loop: Header=BB89_14 Depth=1
	s_or_b64 exec, exec, s[28:29]
	v_cmp_gt_u32_e32 vcc, s30, v89
	s_and_saveexec_b64 s[28:29], vcc
	s_cbranch_execnz .LBB89_94
.LBB89_72:                              ;   in Loop: Header=BB89_14 Depth=1
	s_or_b64 exec, exec, s[28:29]
	v_cmp_gt_u32_e32 vcc, s30, v90
	s_and_saveexec_b64 s[28:29], vcc
	s_cbranch_execnz .LBB89_95
.LBB89_73:                              ;   in Loop: Header=BB89_14 Depth=1
	s_or_b64 exec, exec, s[28:29]
	v_cmp_gt_u32_e32 vcc, s30, v91
	s_and_saveexec_b64 s[28:29], vcc
	s_cbranch_execnz .LBB89_96
.LBB89_74:                              ;   in Loop: Header=BB89_14 Depth=1
	s_or_b64 exec, exec, s[28:29]
	v_cmp_gt_u32_e32 vcc, s30, v92
	s_and_saveexec_b64 s[28:29], vcc
	s_cbranch_execnz .LBB89_97
.LBB89_75:                              ;   in Loop: Header=BB89_14 Depth=1
	s_or_b64 exec, exec, s[28:29]
	v_cmp_gt_u32_e32 vcc, s30, v93
	s_and_saveexec_b64 s[28:29], vcc
	s_cbranch_execz .LBB89_77
.LBB89_76:                              ;   in Loop: Header=BB89_14 Depth=1
	s_waitcnt lgkmcnt(2)
	v_add_co_u32_e32 v52, vcc, 0x1000, v0
	s_nop 1
	v_addc_co_u32_e32 v53, vcc, 0, v1, vcc
	s_waitcnt lgkmcnt(1)
	global_store_dwordx2 v[52:53], v[50:51], off offset:3072
.LBB89_77:                              ;   in Loop: Header=BB89_14 Depth=1
	s_or_b64 exec, exec, s[28:29]
	v_cmp_gt_u32_e64 s[28:29], s30, v94
	s_branch .LBB89_79
.LBB89_78:                              ;   in Loop: Header=BB89_14 Depth=1
	ds_write2_b64 v111, v[46:47], v[48:49] offset1:1
	ds_write2_b64 v111, v[28:29], v[30:31] offset0:2 offset1:3
	ds_write2_b64 v111, v[22:23], v[24:25] offset0:4 offset1:5
	;; [unrolled: 1-line block ×7, first 2 shown]
	; wave barrier
	ds_read_b64 v[2:3], v95
	ds_read_b64 v[4:5], v96 offset:512
	ds_read_b64 v[6:7], v97 offset:1024
	;; [unrolled: 1-line block ×14, first 2 shown]
	s_waitcnt lgkmcnt(14)
	ds_read_b64 v[26:27], v110 offset:7680
	global_store_dwordx2 v[0:1], v[2:3], off
	s_waitcnt lgkmcnt(14)
	global_store_dwordx2 v[0:1], v[4:5], off offset:512
	s_waitcnt lgkmcnt(13)
	global_store_dwordx2 v[0:1], v[6:7], off offset:1024
	;; [unrolled: 2-line block ×7, first 2 shown]
	v_add_co_u32_e32 v2, vcc, 0x1000, v0
	s_or_b64 s[28:29], s[28:29], exec
	s_nop 0
	v_addc_co_u32_e32 v3, vcc, 0, v1, vcc
	s_waitcnt lgkmcnt(7)
	global_store_dwordx2 v[2:3], v[18:19], off
	s_waitcnt lgkmcnt(6)
	global_store_dwordx2 v[2:3], v[20:21], off offset:512
	s_waitcnt lgkmcnt(5)
	global_store_dwordx2 v[2:3], v[22:23], off offset:1024
	;; [unrolled: 2-line block ×6, first 2 shown]
.LBB89_79:                              ;   in Loop: Header=BB89_14 Depth=1
	s_and_saveexec_b64 s[36:37], s[28:29]
	s_cbranch_execz .LBB89_81
; %bb.80:                               ;   in Loop: Header=BB89_14 Depth=1
	v_add_co_u32_e32 v0, vcc, 0x1000, v0
	s_nop 1
	v_addc_co_u32_e32 v1, vcc, 0, v1, vcc
	s_waitcnt lgkmcnt(0)
	global_store_dwordx2 v[0:1], v[26:27], off offset:3584
.LBB89_81:                              ;   in Loop: Header=BB89_14 Depth=1
	s_or_b64 exec, exec, s[36:37]
	v_cmp_lt_i64_e32 vcc, s[30:31], v[44:45]
	s_mov_b64 s[28:29], -1
	s_cbranch_vccnz .LBB89_13
; %bb.82:                               ;   in Loop: Header=BB89_14 Depth=1
	s_add_u32 s30, s30, 0xfffff000
	s_addc_u32 s31, s31, -1
	s_add_i32 s33, s33, -1
	s_cmp_eq_u32 s33, 0
	v_lshl_add_u64 v[36:37], v[36:37], 0, s[34:35]
	v_lshl_add_u64 v[38:39], v[38:39], 0, s[34:35]
	s_cselect_b64 s[28:29], -1, 0
	s_waitcnt lgkmcnt(0)
	s_barrier
	s_branch .LBB89_13
.LBB89_83:                              ;   in Loop: Header=BB89_14 Depth=1
	s_mov_b64 s[28:29], 0
                                        ; implicit-def: $vgpr26_vgpr27
	s_cbranch_execnz .LBB89_78
	s_branch .LBB89_79
.LBB89_84:                              ;   in Loop: Header=BB89_14 Depth=1
	ds_read_b64 v[116:117], v95
	s_waitcnt lgkmcnt(0)
	global_store_dwordx2 v[0:1], v[116:117], off
	s_or_b64 exec, exec, s[28:29]
	v_cmp_gt_u32_e32 vcc, s30, v80
	s_and_saveexec_b64 s[28:29], vcc
	s_cbranch_execz .LBB89_63
.LBB89_85:                              ;   in Loop: Header=BB89_14 Depth=1
	s_waitcnt lgkmcnt(14)
	global_store_dwordx2 v[0:1], v[76:77], off offset:512
	s_or_b64 exec, exec, s[28:29]
	v_cmp_gt_u32_e32 vcc, s30, v81
	s_and_saveexec_b64 s[28:29], vcc
	s_cbranch_execz .LBB89_64
.LBB89_86:                              ;   in Loop: Header=BB89_14 Depth=1
	s_waitcnt lgkmcnt(13)
	global_store_dwordx2 v[0:1], v[74:75], off offset:1024
	s_or_b64 exec, exec, s[28:29]
	v_cmp_gt_u32_e32 vcc, s30, v82
	s_and_saveexec_b64 s[28:29], vcc
	s_cbranch_execz .LBB89_65
.LBB89_87:                              ;   in Loop: Header=BB89_14 Depth=1
	s_waitcnt lgkmcnt(12)
	global_store_dwordx2 v[0:1], v[72:73], off offset:1536
	s_or_b64 exec, exec, s[28:29]
	v_cmp_gt_u32_e32 vcc, s30, v83
	s_and_saveexec_b64 s[28:29], vcc
	s_cbranch_execz .LBB89_66
.LBB89_88:                              ;   in Loop: Header=BB89_14 Depth=1
	s_waitcnt lgkmcnt(11)
	global_store_dwordx2 v[0:1], v[70:71], off offset:2048
	s_or_b64 exec, exec, s[28:29]
	v_cmp_gt_u32_e32 vcc, s30, v84
	s_and_saveexec_b64 s[28:29], vcc
	s_cbranch_execz .LBB89_67
.LBB89_89:                              ;   in Loop: Header=BB89_14 Depth=1
	s_waitcnt lgkmcnt(10)
	global_store_dwordx2 v[0:1], v[68:69], off offset:2560
	s_or_b64 exec, exec, s[28:29]
	v_cmp_gt_u32_e32 vcc, s30, v85
	s_and_saveexec_b64 s[28:29], vcc
	s_cbranch_execz .LBB89_68
.LBB89_90:                              ;   in Loop: Header=BB89_14 Depth=1
	s_waitcnt lgkmcnt(9)
	global_store_dwordx2 v[0:1], v[66:67], off offset:3072
	s_or_b64 exec, exec, s[28:29]
	v_cmp_gt_u32_e32 vcc, s30, v86
	s_and_saveexec_b64 s[28:29], vcc
	s_cbranch_execz .LBB89_69
.LBB89_91:                              ;   in Loop: Header=BB89_14 Depth=1
	s_waitcnt lgkmcnt(8)
	global_store_dwordx2 v[0:1], v[64:65], off offset:3584
	s_or_b64 exec, exec, s[28:29]
	v_cmp_gt_u32_e32 vcc, s30, v87
	s_and_saveexec_b64 s[28:29], vcc
	s_cbranch_execz .LBB89_70
.LBB89_92:                              ;   in Loop: Header=BB89_14 Depth=1
	s_waitcnt lgkmcnt(8)
	v_add_co_u32_e32 v64, vcc, 0x1000, v0
	s_nop 1
	v_addc_co_u32_e32 v65, vcc, 0, v1, vcc
	s_waitcnt lgkmcnt(7)
	global_store_dwordx2 v[64:65], v[62:63], off
	s_or_b64 exec, exec, s[28:29]
	v_cmp_gt_u32_e32 vcc, s30, v88
	s_and_saveexec_b64 s[28:29], vcc
	s_cbranch_execz .LBB89_71
.LBB89_93:                              ;   in Loop: Header=BB89_14 Depth=1
	s_waitcnt lgkmcnt(7)
	v_add_co_u32_e32 v62, vcc, 0x1000, v0
	s_nop 1
	v_addc_co_u32_e32 v63, vcc, 0, v1, vcc
	s_waitcnt lgkmcnt(6)
	global_store_dwordx2 v[62:63], v[60:61], off offset:512
	s_or_b64 exec, exec, s[28:29]
	v_cmp_gt_u32_e32 vcc, s30, v89
	s_and_saveexec_b64 s[28:29], vcc
	s_cbranch_execz .LBB89_72
.LBB89_94:                              ;   in Loop: Header=BB89_14 Depth=1
	s_waitcnt lgkmcnt(6)
	v_add_co_u32_e32 v60, vcc, 0x1000, v0
	s_nop 1
	v_addc_co_u32_e32 v61, vcc, 0, v1, vcc
	s_waitcnt lgkmcnt(5)
	global_store_dwordx2 v[60:61], v[58:59], off offset:1024
	s_or_b64 exec, exec, s[28:29]
	v_cmp_gt_u32_e32 vcc, s30, v90
	s_and_saveexec_b64 s[28:29], vcc
	s_cbranch_execz .LBB89_73
.LBB89_95:                              ;   in Loop: Header=BB89_14 Depth=1
	s_waitcnt lgkmcnt(5)
	v_add_co_u32_e32 v58, vcc, 0x1000, v0
	s_nop 1
	v_addc_co_u32_e32 v59, vcc, 0, v1, vcc
	s_waitcnt lgkmcnt(4)
	global_store_dwordx2 v[58:59], v[56:57], off offset:1536
	s_or_b64 exec, exec, s[28:29]
	v_cmp_gt_u32_e32 vcc, s30, v91
	s_and_saveexec_b64 s[28:29], vcc
	s_cbranch_execz .LBB89_74
.LBB89_96:                              ;   in Loop: Header=BB89_14 Depth=1
	s_waitcnt lgkmcnt(4)
	v_add_co_u32_e32 v56, vcc, 0x1000, v0
	s_nop 1
	v_addc_co_u32_e32 v57, vcc, 0, v1, vcc
	s_waitcnt lgkmcnt(3)
	global_store_dwordx2 v[56:57], v[54:55], off offset:2048
	s_or_b64 exec, exec, s[28:29]
	v_cmp_gt_u32_e32 vcc, s30, v92
	s_and_saveexec_b64 s[28:29], vcc
	s_cbranch_execz .LBB89_75
.LBB89_97:                              ;   in Loop: Header=BB89_14 Depth=1
	s_waitcnt lgkmcnt(3)
	v_add_co_u32_e32 v54, vcc, 0x1000, v0
	s_nop 1
	v_addc_co_u32_e32 v55, vcc, 0, v1, vcc
	s_waitcnt lgkmcnt(2)
	global_store_dwordx2 v[54:55], v[52:53], off offset:2560
	s_or_b64 exec, exec, s[28:29]
	v_cmp_gt_u32_e32 vcc, s30, v93
	s_and_saveexec_b64 s[28:29], vcc
	s_cbranch_execnz .LBB89_76
	s_branch .LBB89_77
.LBB89_98:
	s_endpgm
	.section	.rodata,"a",@progbits
	.p2align	6, 0x0
	.amdhsa_kernel _ZN2at4cuda3cub17final_scan_kernelILi256ELi16EN3c107complexIfEEEEvPKT1_PS6_S9_li
		.amdhsa_group_segment_fixed_size 33792
		.amdhsa_private_segment_fixed_size 0
		.amdhsa_kernarg_size 296
		.amdhsa_user_sgpr_count 2
		.amdhsa_user_sgpr_dispatch_ptr 0
		.amdhsa_user_sgpr_queue_ptr 0
		.amdhsa_user_sgpr_kernarg_segment_ptr 1
		.amdhsa_user_sgpr_dispatch_id 0
		.amdhsa_user_sgpr_kernarg_preload_length 0
		.amdhsa_user_sgpr_kernarg_preload_offset 0
		.amdhsa_user_sgpr_private_segment_size 0
		.amdhsa_uses_dynamic_stack 0
		.amdhsa_enable_private_segment 0
		.amdhsa_system_sgpr_workgroup_id_x 1
		.amdhsa_system_sgpr_workgroup_id_y 0
		.amdhsa_system_sgpr_workgroup_id_z 0
		.amdhsa_system_sgpr_workgroup_info 0
		.amdhsa_system_vgpr_workitem_id 0
		.amdhsa_next_free_vgpr 118
		.amdhsa_next_free_sgpr 44
		.amdhsa_accum_offset 120
		.amdhsa_reserve_vcc 1
		.amdhsa_float_round_mode_32 0
		.amdhsa_float_round_mode_16_64 0
		.amdhsa_float_denorm_mode_32 3
		.amdhsa_float_denorm_mode_16_64 3
		.amdhsa_dx10_clamp 1
		.amdhsa_ieee_mode 1
		.amdhsa_fp16_overflow 0
		.amdhsa_tg_split 0
		.amdhsa_exception_fp_ieee_invalid_op 0
		.amdhsa_exception_fp_denorm_src 0
		.amdhsa_exception_fp_ieee_div_zero 0
		.amdhsa_exception_fp_ieee_overflow 0
		.amdhsa_exception_fp_ieee_underflow 0
		.amdhsa_exception_fp_ieee_inexact 0
		.amdhsa_exception_int_div_zero 0
	.end_amdhsa_kernel
	.section	.text._ZN2at4cuda3cub17final_scan_kernelILi256ELi16EN3c107complexIfEEEEvPKT1_PS6_S9_li,"axG",@progbits,_ZN2at4cuda3cub17final_scan_kernelILi256ELi16EN3c107complexIfEEEEvPKT1_PS6_S9_li,comdat
.Lfunc_end89:
	.size	_ZN2at4cuda3cub17final_scan_kernelILi256ELi16EN3c107complexIfEEEEvPKT1_PS6_S9_li, .Lfunc_end89-_ZN2at4cuda3cub17final_scan_kernelILi256ELi16EN3c107complexIfEEEEvPKT1_PS6_S9_li
                                        ; -- End function
	.set _ZN2at4cuda3cub17final_scan_kernelILi256ELi16EN3c107complexIfEEEEvPKT1_PS6_S9_li.num_vgpr, 118
	.set _ZN2at4cuda3cub17final_scan_kernelILi256ELi16EN3c107complexIfEEEEvPKT1_PS6_S9_li.num_agpr, 0
	.set _ZN2at4cuda3cub17final_scan_kernelILi256ELi16EN3c107complexIfEEEEvPKT1_PS6_S9_li.numbered_sgpr, 44
	.set _ZN2at4cuda3cub17final_scan_kernelILi256ELi16EN3c107complexIfEEEEvPKT1_PS6_S9_li.num_named_barrier, 0
	.set _ZN2at4cuda3cub17final_scan_kernelILi256ELi16EN3c107complexIfEEEEvPKT1_PS6_S9_li.private_seg_size, 0
	.set _ZN2at4cuda3cub17final_scan_kernelILi256ELi16EN3c107complexIfEEEEvPKT1_PS6_S9_li.uses_vcc, 1
	.set _ZN2at4cuda3cub17final_scan_kernelILi256ELi16EN3c107complexIfEEEEvPKT1_PS6_S9_li.uses_flat_scratch, 0
	.set _ZN2at4cuda3cub17final_scan_kernelILi256ELi16EN3c107complexIfEEEEvPKT1_PS6_S9_li.has_dyn_sized_stack, 0
	.set _ZN2at4cuda3cub17final_scan_kernelILi256ELi16EN3c107complexIfEEEEvPKT1_PS6_S9_li.has_recursion, 0
	.set _ZN2at4cuda3cub17final_scan_kernelILi256ELi16EN3c107complexIfEEEEvPKT1_PS6_S9_li.has_indirect_call, 0
	.section	.AMDGPU.csdata,"",@progbits
; Kernel info:
; codeLenInByte = 4972
; TotalNumSgprs: 50
; NumVgprs: 118
; NumAgprs: 0
; TotalNumVgprs: 118
; ScratchSize: 0
; MemoryBound: 0
; FloatMode: 240
; IeeeMode: 1
; LDSByteSize: 33792 bytes/workgroup (compile time only)
; SGPRBlocks: 6
; VGPRBlocks: 14
; NumSGPRsForWavesPerEU: 50
; NumVGPRsForWavesPerEU: 118
; AccumOffset: 120
; Occupancy: 4
; WaveLimiterHint : 1
; COMPUTE_PGM_RSRC2:SCRATCH_EN: 0
; COMPUTE_PGM_RSRC2:USER_SGPR: 2
; COMPUTE_PGM_RSRC2:TRAP_HANDLER: 0
; COMPUTE_PGM_RSRC2:TGID_X_EN: 1
; COMPUTE_PGM_RSRC2:TGID_Y_EN: 0
; COMPUTE_PGM_RSRC2:TGID_Z_EN: 0
; COMPUTE_PGM_RSRC2:TIDIG_COMP_CNT: 0
; COMPUTE_PGM_RSRC3_GFX90A:ACCUM_OFFSET: 29
; COMPUTE_PGM_RSRC3_GFX90A:TG_SPLIT: 0
	.section	.text._ZN7rocprim17ROCPRIM_304000_NS6detail31init_lookback_scan_state_kernelINS1_19lookback_scan_stateIN3c107complexIfEELb1ELb1EEEEEvT_jjPNS8_10value_typeE,"axG",@progbits,_ZN7rocprim17ROCPRIM_304000_NS6detail31init_lookback_scan_state_kernelINS1_19lookback_scan_stateIN3c107complexIfEELb1ELb1EEEEEvT_jjPNS8_10value_typeE,comdat
	.protected	_ZN7rocprim17ROCPRIM_304000_NS6detail31init_lookback_scan_state_kernelINS1_19lookback_scan_stateIN3c107complexIfEELb1ELb1EEEEEvT_jjPNS8_10value_typeE ; -- Begin function _ZN7rocprim17ROCPRIM_304000_NS6detail31init_lookback_scan_state_kernelINS1_19lookback_scan_stateIN3c107complexIfEELb1ELb1EEEEEvT_jjPNS8_10value_typeE
	.globl	_ZN7rocprim17ROCPRIM_304000_NS6detail31init_lookback_scan_state_kernelINS1_19lookback_scan_stateIN3c107complexIfEELb1ELb1EEEEEvT_jjPNS8_10value_typeE
	.p2align	8
	.type	_ZN7rocprim17ROCPRIM_304000_NS6detail31init_lookback_scan_state_kernelINS1_19lookback_scan_stateIN3c107complexIfEELb1ELb1EEEEEvT_jjPNS8_10value_typeE,@function
_ZN7rocprim17ROCPRIM_304000_NS6detail31init_lookback_scan_state_kernelINS1_19lookback_scan_stateIN3c107complexIfEELb1ELb1EEEEEvT_jjPNS8_10value_typeE: ; @_ZN7rocprim17ROCPRIM_304000_NS6detail31init_lookback_scan_state_kernelINS1_19lookback_scan_stateIN3c107complexIfEELb1ELb1EEEEEvT_jjPNS8_10value_typeE
; %bb.0:
	s_load_dword s3, s[0:1], 0x24
	s_load_dwordx2 s[8:9], s[0:1], 0x10
	s_load_dwordx4 s[4:7], s[0:1], 0x0
	s_waitcnt lgkmcnt(0)
	s_and_b32 s0, s3, 0xffff
	s_mul_i32 s2, s2, s0
	s_cmp_eq_u64 s[8:9], 0
	v_add_u32_e32 v0, s2, v0
	s_cbranch_scc1 .LBB90_10
; %bb.1:
	s_cmp_lt_u32 s7, s6
	s_cselect_b32 s0, s7, 0
	s_mov_b32 s3, 0
	v_cmp_eq_u32_e32 vcc, s0, v0
	s_and_saveexec_b64 s[0:1], vcc
	s_cbranch_execz .LBB90_9
; %bb.2:
	s_add_i32 s2, s7, 64
	s_lshl_b64 s[2:3], s[2:3], 4
	s_add_u32 s12, s4, s2
	s_addc_u32 s13, s5, s3
	v_mov_b64_e32 v[2:3], s[12:13]
	;;#ASMSTART
	global_load_dwordx4 v[2:5], v[2:3] off sc1	
s_waitcnt vmcnt(0)
	;;#ASMEND
	v_mov_b32_e32 v7, 0
	v_and_b32_e32 v6, 0xff, v4
	s_mov_b64 s[10:11], 0
	v_cmp_eq_u64_e32 vcc, 0, v[6:7]
	s_and_saveexec_b64 s[2:3], vcc
	s_cbranch_execz .LBB90_8
; %bb.3:
	s_mov_b32 s7, 1
	v_mov_b64_e32 v[8:9], s[12:13]
.LBB90_4:                               ; =>This Loop Header: Depth=1
                                        ;     Child Loop BB90_5 Depth 2
	s_mov_b32 s12, s7
.LBB90_5:                               ;   Parent Loop BB90_4 Depth=1
                                        ; =>  This Inner Loop Header: Depth=2
	s_add_i32 s12, s12, -1
	s_cmp_eq_u32 s12, 0
	s_sleep 1
	s_cbranch_scc0 .LBB90_5
; %bb.6:                                ;   in Loop: Header=BB90_4 Depth=1
	s_cmp_lt_u32 s7, 32
	s_cselect_b64 s[12:13], -1, 0
	s_cmp_lg_u64 s[12:13], 0
	;;#ASMSTART
	global_load_dwordx4 v[2:5], v[8:9] off sc1	
s_waitcnt vmcnt(0)
	;;#ASMEND
	s_addc_u32 s7, s7, 0
	v_and_b32_e32 v6, 0xff, v4
	v_cmp_ne_u64_e32 vcc, 0, v[6:7]
	s_or_b64 s[10:11], vcc, s[10:11]
	s_andn2_b64 exec, exec, s[10:11]
	s_cbranch_execnz .LBB90_4
; %bb.7:
	s_or_b64 exec, exec, s[10:11]
.LBB90_8:
	s_or_b64 exec, exec, s[2:3]
	v_mov_b32_e32 v1, 0
	global_store_dwordx2 v1, v[2:3], s[8:9]
.LBB90_9:
	s_or_b64 exec, exec, s[0:1]
.LBB90_10:
	v_cmp_gt_u32_e32 vcc, s6, v0
	s_and_saveexec_b64 s[0:1], vcc
	s_cbranch_execnz .LBB90_13
; %bb.11:
	s_or_b64 exec, exec, s[0:1]
	v_cmp_gt_u32_e32 vcc, 64, v0
	s_and_saveexec_b64 s[0:1], vcc
	s_cbranch_execnz .LBB90_14
.LBB90_12:
	s_endpgm
.LBB90_13:
	v_add_u32_e32 v2, 64, v0
	v_mov_b32_e32 v3, 0
	v_lshl_add_u64 v[6:7], v[2:3], 4, s[4:5]
	v_mov_b32_e32 v2, v3
	v_mov_b32_e32 v4, v3
	v_mov_b32_e32 v5, v3
	global_store_dwordx4 v[6:7], v[2:5], off
	s_or_b64 exec, exec, s[0:1]
	v_cmp_gt_u32_e32 vcc, 64, v0
	s_and_saveexec_b64 s[0:1], vcc
	s_cbranch_execz .LBB90_12
.LBB90_14:
	v_mov_b32_e32 v1, 0
	v_lshl_add_u64 v[4:5], v[0:1], 4, s[4:5]
	v_mov_b32_e32 v2, 0xff
	v_mov_b32_e32 v0, v1
	;; [unrolled: 1-line block ×3, first 2 shown]
	global_store_dwordx4 v[4:5], v[0:3], off
	s_endpgm
	.section	.rodata,"a",@progbits
	.p2align	6, 0x0
	.amdhsa_kernel _ZN7rocprim17ROCPRIM_304000_NS6detail31init_lookback_scan_state_kernelINS1_19lookback_scan_stateIN3c107complexIfEELb1ELb1EEEEEvT_jjPNS8_10value_typeE
		.amdhsa_group_segment_fixed_size 0
		.amdhsa_private_segment_fixed_size 0
		.amdhsa_kernarg_size 280
		.amdhsa_user_sgpr_count 2
		.amdhsa_user_sgpr_dispatch_ptr 0
		.amdhsa_user_sgpr_queue_ptr 0
		.amdhsa_user_sgpr_kernarg_segment_ptr 1
		.amdhsa_user_sgpr_dispatch_id 0
		.amdhsa_user_sgpr_kernarg_preload_length 0
		.amdhsa_user_sgpr_kernarg_preload_offset 0
		.amdhsa_user_sgpr_private_segment_size 0
		.amdhsa_uses_dynamic_stack 0
		.amdhsa_enable_private_segment 0
		.amdhsa_system_sgpr_workgroup_id_x 1
		.amdhsa_system_sgpr_workgroup_id_y 0
		.amdhsa_system_sgpr_workgroup_id_z 0
		.amdhsa_system_sgpr_workgroup_info 0
		.amdhsa_system_vgpr_workitem_id 0
		.amdhsa_next_free_vgpr 10
		.amdhsa_next_free_sgpr 14
		.amdhsa_accum_offset 12
		.amdhsa_reserve_vcc 1
		.amdhsa_float_round_mode_32 0
		.amdhsa_float_round_mode_16_64 0
		.amdhsa_float_denorm_mode_32 3
		.amdhsa_float_denorm_mode_16_64 3
		.amdhsa_dx10_clamp 1
		.amdhsa_ieee_mode 1
		.amdhsa_fp16_overflow 0
		.amdhsa_tg_split 0
		.amdhsa_exception_fp_ieee_invalid_op 0
		.amdhsa_exception_fp_denorm_src 0
		.amdhsa_exception_fp_ieee_div_zero 0
		.amdhsa_exception_fp_ieee_overflow 0
		.amdhsa_exception_fp_ieee_underflow 0
		.amdhsa_exception_fp_ieee_inexact 0
		.amdhsa_exception_int_div_zero 0
	.end_amdhsa_kernel
	.section	.text._ZN7rocprim17ROCPRIM_304000_NS6detail31init_lookback_scan_state_kernelINS1_19lookback_scan_stateIN3c107complexIfEELb1ELb1EEEEEvT_jjPNS8_10value_typeE,"axG",@progbits,_ZN7rocprim17ROCPRIM_304000_NS6detail31init_lookback_scan_state_kernelINS1_19lookback_scan_stateIN3c107complexIfEELb1ELb1EEEEEvT_jjPNS8_10value_typeE,comdat
.Lfunc_end90:
	.size	_ZN7rocprim17ROCPRIM_304000_NS6detail31init_lookback_scan_state_kernelINS1_19lookback_scan_stateIN3c107complexIfEELb1ELb1EEEEEvT_jjPNS8_10value_typeE, .Lfunc_end90-_ZN7rocprim17ROCPRIM_304000_NS6detail31init_lookback_scan_state_kernelINS1_19lookback_scan_stateIN3c107complexIfEELb1ELb1EEEEEvT_jjPNS8_10value_typeE
                                        ; -- End function
	.set _ZN7rocprim17ROCPRIM_304000_NS6detail31init_lookback_scan_state_kernelINS1_19lookback_scan_stateIN3c107complexIfEELb1ELb1EEEEEvT_jjPNS8_10value_typeE.num_vgpr, 10
	.set _ZN7rocprim17ROCPRIM_304000_NS6detail31init_lookback_scan_state_kernelINS1_19lookback_scan_stateIN3c107complexIfEELb1ELb1EEEEEvT_jjPNS8_10value_typeE.num_agpr, 0
	.set _ZN7rocprim17ROCPRIM_304000_NS6detail31init_lookback_scan_state_kernelINS1_19lookback_scan_stateIN3c107complexIfEELb1ELb1EEEEEvT_jjPNS8_10value_typeE.numbered_sgpr, 14
	.set _ZN7rocprim17ROCPRIM_304000_NS6detail31init_lookback_scan_state_kernelINS1_19lookback_scan_stateIN3c107complexIfEELb1ELb1EEEEEvT_jjPNS8_10value_typeE.num_named_barrier, 0
	.set _ZN7rocprim17ROCPRIM_304000_NS6detail31init_lookback_scan_state_kernelINS1_19lookback_scan_stateIN3c107complexIfEELb1ELb1EEEEEvT_jjPNS8_10value_typeE.private_seg_size, 0
	.set _ZN7rocprim17ROCPRIM_304000_NS6detail31init_lookback_scan_state_kernelINS1_19lookback_scan_stateIN3c107complexIfEELb1ELb1EEEEEvT_jjPNS8_10value_typeE.uses_vcc, 1
	.set _ZN7rocprim17ROCPRIM_304000_NS6detail31init_lookback_scan_state_kernelINS1_19lookback_scan_stateIN3c107complexIfEELb1ELb1EEEEEvT_jjPNS8_10value_typeE.uses_flat_scratch, 0
	.set _ZN7rocprim17ROCPRIM_304000_NS6detail31init_lookback_scan_state_kernelINS1_19lookback_scan_stateIN3c107complexIfEELb1ELb1EEEEEvT_jjPNS8_10value_typeE.has_dyn_sized_stack, 0
	.set _ZN7rocprim17ROCPRIM_304000_NS6detail31init_lookback_scan_state_kernelINS1_19lookback_scan_stateIN3c107complexIfEELb1ELb1EEEEEvT_jjPNS8_10value_typeE.has_recursion, 0
	.set _ZN7rocprim17ROCPRIM_304000_NS6detail31init_lookback_scan_state_kernelINS1_19lookback_scan_stateIN3c107complexIfEELb1ELb1EEEEEvT_jjPNS8_10value_typeE.has_indirect_call, 0
	.section	.AMDGPU.csdata,"",@progbits
; Kernel info:
; codeLenInByte = 404
; TotalNumSgprs: 20
; NumVgprs: 10
; NumAgprs: 0
; TotalNumVgprs: 10
; ScratchSize: 0
; MemoryBound: 0
; FloatMode: 240
; IeeeMode: 1
; LDSByteSize: 0 bytes/workgroup (compile time only)
; SGPRBlocks: 2
; VGPRBlocks: 1
; NumSGPRsForWavesPerEU: 20
; NumVGPRsForWavesPerEU: 10
; AccumOffset: 12
; Occupancy: 8
; WaveLimiterHint : 0
; COMPUTE_PGM_RSRC2:SCRATCH_EN: 0
; COMPUTE_PGM_RSRC2:USER_SGPR: 2
; COMPUTE_PGM_RSRC2:TRAP_HANDLER: 0
; COMPUTE_PGM_RSRC2:TGID_X_EN: 1
; COMPUTE_PGM_RSRC2:TGID_Y_EN: 0
; COMPUTE_PGM_RSRC2:TGID_Z_EN: 0
; COMPUTE_PGM_RSRC2:TIDIG_COMP_CNT: 0
; COMPUTE_PGM_RSRC3_GFX90A:ACCUM_OFFSET: 2
; COMPUTE_PGM_RSRC3_GFX90A:TG_SPLIT: 0
	.section	.text._ZN7rocprim17ROCPRIM_304000_NS6detail31init_lookback_scan_state_kernelINS1_19lookback_scan_stateIN3c107complexIfEELb0ELb1EEEEEvT_jjPNS8_10value_typeE,"axG",@progbits,_ZN7rocprim17ROCPRIM_304000_NS6detail31init_lookback_scan_state_kernelINS1_19lookback_scan_stateIN3c107complexIfEELb0ELb1EEEEEvT_jjPNS8_10value_typeE,comdat
	.protected	_ZN7rocprim17ROCPRIM_304000_NS6detail31init_lookback_scan_state_kernelINS1_19lookback_scan_stateIN3c107complexIfEELb0ELb1EEEEEvT_jjPNS8_10value_typeE ; -- Begin function _ZN7rocprim17ROCPRIM_304000_NS6detail31init_lookback_scan_state_kernelINS1_19lookback_scan_stateIN3c107complexIfEELb0ELb1EEEEEvT_jjPNS8_10value_typeE
	.globl	_ZN7rocprim17ROCPRIM_304000_NS6detail31init_lookback_scan_state_kernelINS1_19lookback_scan_stateIN3c107complexIfEELb0ELb1EEEEEvT_jjPNS8_10value_typeE
	.p2align	8
	.type	_ZN7rocprim17ROCPRIM_304000_NS6detail31init_lookback_scan_state_kernelINS1_19lookback_scan_stateIN3c107complexIfEELb0ELb1EEEEEvT_jjPNS8_10value_typeE,@function
_ZN7rocprim17ROCPRIM_304000_NS6detail31init_lookback_scan_state_kernelINS1_19lookback_scan_stateIN3c107complexIfEELb0ELb1EEEEEvT_jjPNS8_10value_typeE: ; @_ZN7rocprim17ROCPRIM_304000_NS6detail31init_lookback_scan_state_kernelINS1_19lookback_scan_stateIN3c107complexIfEELb0ELb1EEEEEvT_jjPNS8_10value_typeE
; %bb.0:
	s_load_dword s3, s[0:1], 0x24
	s_load_dwordx2 s[8:9], s[0:1], 0x10
	s_load_dwordx4 s[4:7], s[0:1], 0x0
	s_waitcnt lgkmcnt(0)
	s_and_b32 s0, s3, 0xffff
	s_mul_i32 s2, s2, s0
	s_cmp_eq_u64 s[8:9], 0
	v_add_u32_e32 v0, s2, v0
	s_cbranch_scc1 .LBB91_8
; %bb.1:
	s_cmp_lt_u32 s7, s6
	s_cselect_b32 s0, s7, 0
	s_mov_b32 s3, 0
	v_cmp_eq_u32_e32 vcc, s0, v0
	s_and_saveexec_b64 s[0:1], vcc
	s_cbranch_execz .LBB91_7
; %bb.2:
	s_add_i32 s2, s7, 64
	s_lshl_b64 s[2:3], s[2:3], 4
	s_add_u32 s12, s4, s2
	s_addc_u32 s13, s5, s3
	v_mov_b64_e32 v[2:3], s[12:13]
	;;#ASMSTART
	global_load_dwordx4 v[2:5], v[2:3] off sc1	
s_waitcnt vmcnt(0)
	;;#ASMEND
	v_mov_b32_e32 v7, 0
	v_and_b32_e32 v6, 0xff, v4
	s_mov_b64 s[10:11], 0
	v_cmp_eq_u64_e32 vcc, 0, v[6:7]
	s_and_saveexec_b64 s[2:3], vcc
	s_cbranch_execz .LBB91_6
; %bb.3:
	v_mov_b64_e32 v[8:9], s[12:13]
.LBB91_4:                               ; =>This Inner Loop Header: Depth=1
	;;#ASMSTART
	global_load_dwordx4 v[2:5], v[8:9] off sc1	
s_waitcnt vmcnt(0)
	;;#ASMEND
	s_nop 0
	v_and_b32_e32 v6, 0xff, v4
	v_cmp_ne_u64_e32 vcc, 0, v[6:7]
	s_or_b64 s[10:11], vcc, s[10:11]
	s_andn2_b64 exec, exec, s[10:11]
	s_cbranch_execnz .LBB91_4
; %bb.5:
	s_or_b64 exec, exec, s[10:11]
.LBB91_6:
	s_or_b64 exec, exec, s[2:3]
	v_mov_b32_e32 v1, 0
	global_store_dwordx2 v1, v[2:3], s[8:9]
.LBB91_7:
	s_or_b64 exec, exec, s[0:1]
.LBB91_8:
	v_cmp_gt_u32_e32 vcc, s6, v0
	s_and_saveexec_b64 s[0:1], vcc
	s_cbranch_execnz .LBB91_11
; %bb.9:
	s_or_b64 exec, exec, s[0:1]
	v_cmp_gt_u32_e32 vcc, 64, v0
	s_and_saveexec_b64 s[0:1], vcc
	s_cbranch_execnz .LBB91_12
.LBB91_10:
	s_endpgm
.LBB91_11:
	v_add_u32_e32 v2, 64, v0
	v_mov_b32_e32 v3, 0
	v_lshl_add_u64 v[6:7], v[2:3], 4, s[4:5]
	v_mov_b32_e32 v2, v3
	v_mov_b32_e32 v4, v3
	;; [unrolled: 1-line block ×3, first 2 shown]
	global_store_dwordx4 v[6:7], v[2:5], off
	s_or_b64 exec, exec, s[0:1]
	v_cmp_gt_u32_e32 vcc, 64, v0
	s_and_saveexec_b64 s[0:1], vcc
	s_cbranch_execz .LBB91_10
.LBB91_12:
	v_mov_b32_e32 v1, 0
	v_lshl_add_u64 v[4:5], v[0:1], 4, s[4:5]
	v_mov_b32_e32 v2, 0xff
	v_mov_b32_e32 v0, v1
	;; [unrolled: 1-line block ×3, first 2 shown]
	global_store_dwordx4 v[4:5], v[0:3], off
	s_endpgm
	.section	.rodata,"a",@progbits
	.p2align	6, 0x0
	.amdhsa_kernel _ZN7rocprim17ROCPRIM_304000_NS6detail31init_lookback_scan_state_kernelINS1_19lookback_scan_stateIN3c107complexIfEELb0ELb1EEEEEvT_jjPNS8_10value_typeE
		.amdhsa_group_segment_fixed_size 0
		.amdhsa_private_segment_fixed_size 0
		.amdhsa_kernarg_size 280
		.amdhsa_user_sgpr_count 2
		.amdhsa_user_sgpr_dispatch_ptr 0
		.amdhsa_user_sgpr_queue_ptr 0
		.amdhsa_user_sgpr_kernarg_segment_ptr 1
		.amdhsa_user_sgpr_dispatch_id 0
		.amdhsa_user_sgpr_kernarg_preload_length 0
		.amdhsa_user_sgpr_kernarg_preload_offset 0
		.amdhsa_user_sgpr_private_segment_size 0
		.amdhsa_uses_dynamic_stack 0
		.amdhsa_enable_private_segment 0
		.amdhsa_system_sgpr_workgroup_id_x 1
		.amdhsa_system_sgpr_workgroup_id_y 0
		.amdhsa_system_sgpr_workgroup_id_z 0
		.amdhsa_system_sgpr_workgroup_info 0
		.amdhsa_system_vgpr_workitem_id 0
		.amdhsa_next_free_vgpr 10
		.amdhsa_next_free_sgpr 14
		.amdhsa_accum_offset 12
		.amdhsa_reserve_vcc 1
		.amdhsa_float_round_mode_32 0
		.amdhsa_float_round_mode_16_64 0
		.amdhsa_float_denorm_mode_32 3
		.amdhsa_float_denorm_mode_16_64 3
		.amdhsa_dx10_clamp 1
		.amdhsa_ieee_mode 1
		.amdhsa_fp16_overflow 0
		.amdhsa_tg_split 0
		.amdhsa_exception_fp_ieee_invalid_op 0
		.amdhsa_exception_fp_denorm_src 0
		.amdhsa_exception_fp_ieee_div_zero 0
		.amdhsa_exception_fp_ieee_overflow 0
		.amdhsa_exception_fp_ieee_underflow 0
		.amdhsa_exception_fp_ieee_inexact 0
		.amdhsa_exception_int_div_zero 0
	.end_amdhsa_kernel
	.section	.text._ZN7rocprim17ROCPRIM_304000_NS6detail31init_lookback_scan_state_kernelINS1_19lookback_scan_stateIN3c107complexIfEELb0ELb1EEEEEvT_jjPNS8_10value_typeE,"axG",@progbits,_ZN7rocprim17ROCPRIM_304000_NS6detail31init_lookback_scan_state_kernelINS1_19lookback_scan_stateIN3c107complexIfEELb0ELb1EEEEEvT_jjPNS8_10value_typeE,comdat
.Lfunc_end91:
	.size	_ZN7rocprim17ROCPRIM_304000_NS6detail31init_lookback_scan_state_kernelINS1_19lookback_scan_stateIN3c107complexIfEELb0ELb1EEEEEvT_jjPNS8_10value_typeE, .Lfunc_end91-_ZN7rocprim17ROCPRIM_304000_NS6detail31init_lookback_scan_state_kernelINS1_19lookback_scan_stateIN3c107complexIfEELb0ELb1EEEEEvT_jjPNS8_10value_typeE
                                        ; -- End function
	.set _ZN7rocprim17ROCPRIM_304000_NS6detail31init_lookback_scan_state_kernelINS1_19lookback_scan_stateIN3c107complexIfEELb0ELb1EEEEEvT_jjPNS8_10value_typeE.num_vgpr, 10
	.set _ZN7rocprim17ROCPRIM_304000_NS6detail31init_lookback_scan_state_kernelINS1_19lookback_scan_stateIN3c107complexIfEELb0ELb1EEEEEvT_jjPNS8_10value_typeE.num_agpr, 0
	.set _ZN7rocprim17ROCPRIM_304000_NS6detail31init_lookback_scan_state_kernelINS1_19lookback_scan_stateIN3c107complexIfEELb0ELb1EEEEEvT_jjPNS8_10value_typeE.numbered_sgpr, 14
	.set _ZN7rocprim17ROCPRIM_304000_NS6detail31init_lookback_scan_state_kernelINS1_19lookback_scan_stateIN3c107complexIfEELb0ELb1EEEEEvT_jjPNS8_10value_typeE.num_named_barrier, 0
	.set _ZN7rocprim17ROCPRIM_304000_NS6detail31init_lookback_scan_state_kernelINS1_19lookback_scan_stateIN3c107complexIfEELb0ELb1EEEEEvT_jjPNS8_10value_typeE.private_seg_size, 0
	.set _ZN7rocprim17ROCPRIM_304000_NS6detail31init_lookback_scan_state_kernelINS1_19lookback_scan_stateIN3c107complexIfEELb0ELb1EEEEEvT_jjPNS8_10value_typeE.uses_vcc, 1
	.set _ZN7rocprim17ROCPRIM_304000_NS6detail31init_lookback_scan_state_kernelINS1_19lookback_scan_stateIN3c107complexIfEELb0ELb1EEEEEvT_jjPNS8_10value_typeE.uses_flat_scratch, 0
	.set _ZN7rocprim17ROCPRIM_304000_NS6detail31init_lookback_scan_state_kernelINS1_19lookback_scan_stateIN3c107complexIfEELb0ELb1EEEEEvT_jjPNS8_10value_typeE.has_dyn_sized_stack, 0
	.set _ZN7rocprim17ROCPRIM_304000_NS6detail31init_lookback_scan_state_kernelINS1_19lookback_scan_stateIN3c107complexIfEELb0ELb1EEEEEvT_jjPNS8_10value_typeE.has_recursion, 0
	.set _ZN7rocprim17ROCPRIM_304000_NS6detail31init_lookback_scan_state_kernelINS1_19lookback_scan_stateIN3c107complexIfEELb0ELb1EEEEEvT_jjPNS8_10value_typeE.has_indirect_call, 0
	.section	.AMDGPU.csdata,"",@progbits
; Kernel info:
; codeLenInByte = 368
; TotalNumSgprs: 20
; NumVgprs: 10
; NumAgprs: 0
; TotalNumVgprs: 10
; ScratchSize: 0
; MemoryBound: 0
; FloatMode: 240
; IeeeMode: 1
; LDSByteSize: 0 bytes/workgroup (compile time only)
; SGPRBlocks: 2
; VGPRBlocks: 1
; NumSGPRsForWavesPerEU: 20
; NumVGPRsForWavesPerEU: 10
; AccumOffset: 12
; Occupancy: 8
; WaveLimiterHint : 0
; COMPUTE_PGM_RSRC2:SCRATCH_EN: 0
; COMPUTE_PGM_RSRC2:USER_SGPR: 2
; COMPUTE_PGM_RSRC2:TRAP_HANDLER: 0
; COMPUTE_PGM_RSRC2:TGID_X_EN: 1
; COMPUTE_PGM_RSRC2:TGID_Y_EN: 0
; COMPUTE_PGM_RSRC2:TGID_Z_EN: 0
; COMPUTE_PGM_RSRC2:TIDIG_COMP_CNT: 0
; COMPUTE_PGM_RSRC3_GFX90A:ACCUM_OFFSET: 2
; COMPUTE_PGM_RSRC3_GFX90A:TG_SPLIT: 0
	.section	.text._ZN7rocprim17ROCPRIM_304000_NS6detail20lookback_scan_kernelILNS1_25lookback_scan_determinismE0ELb0ENS1_19wrapped_scan_configINS0_14default_configEN3c107complexIfEEEEPKS8_PS8_St4plusIS8_ES8_S8_NS1_19lookback_scan_stateIS8_Lb1ELb1EEEEEvT2_T3_mT5_T4_T7_jPT6_SN_bb,"axG",@progbits,_ZN7rocprim17ROCPRIM_304000_NS6detail20lookback_scan_kernelILNS1_25lookback_scan_determinismE0ELb0ENS1_19wrapped_scan_configINS0_14default_configEN3c107complexIfEEEEPKS8_PS8_St4plusIS8_ES8_S8_NS1_19lookback_scan_stateIS8_Lb1ELb1EEEEEvT2_T3_mT5_T4_T7_jPT6_SN_bb,comdat
	.protected	_ZN7rocprim17ROCPRIM_304000_NS6detail20lookback_scan_kernelILNS1_25lookback_scan_determinismE0ELb0ENS1_19wrapped_scan_configINS0_14default_configEN3c107complexIfEEEEPKS8_PS8_St4plusIS8_ES8_S8_NS1_19lookback_scan_stateIS8_Lb1ELb1EEEEEvT2_T3_mT5_T4_T7_jPT6_SN_bb ; -- Begin function _ZN7rocprim17ROCPRIM_304000_NS6detail20lookback_scan_kernelILNS1_25lookback_scan_determinismE0ELb0ENS1_19wrapped_scan_configINS0_14default_configEN3c107complexIfEEEEPKS8_PS8_St4plusIS8_ES8_S8_NS1_19lookback_scan_stateIS8_Lb1ELb1EEEEEvT2_T3_mT5_T4_T7_jPT6_SN_bb
	.globl	_ZN7rocprim17ROCPRIM_304000_NS6detail20lookback_scan_kernelILNS1_25lookback_scan_determinismE0ELb0ENS1_19wrapped_scan_configINS0_14default_configEN3c107complexIfEEEEPKS8_PS8_St4plusIS8_ES8_S8_NS1_19lookback_scan_stateIS8_Lb1ELb1EEEEEvT2_T3_mT5_T4_T7_jPT6_SN_bb
	.p2align	8
	.type	_ZN7rocprim17ROCPRIM_304000_NS6detail20lookback_scan_kernelILNS1_25lookback_scan_determinismE0ELb0ENS1_19wrapped_scan_configINS0_14default_configEN3c107complexIfEEEEPKS8_PS8_St4plusIS8_ES8_S8_NS1_19lookback_scan_stateIS8_Lb1ELb1EEEEEvT2_T3_mT5_T4_T7_jPT6_SN_bb,@function
_ZN7rocprim17ROCPRIM_304000_NS6detail20lookback_scan_kernelILNS1_25lookback_scan_determinismE0ELb0ENS1_19wrapped_scan_configINS0_14default_configEN3c107complexIfEEEEPKS8_PS8_St4plusIS8_ES8_S8_NS1_19lookback_scan_stateIS8_Lb1ELb1EEEEEvT2_T3_mT5_T4_T7_jPT6_SN_bb: ; @_ZN7rocprim17ROCPRIM_304000_NS6detail20lookback_scan_kernelILNS1_25lookback_scan_determinismE0ELb0ENS1_19wrapped_scan_configINS0_14default_configEN3c107complexIfEEEEPKS8_PS8_St4plusIS8_ES8_S8_NS1_19lookback_scan_stateIS8_Lb1ELb1EEEEEvT2_T3_mT5_T4_T7_jPT6_SN_bb
; %bb.0:
	s_endpgm
	.section	.rodata,"a",@progbits
	.p2align	6, 0x0
	.amdhsa_kernel _ZN7rocprim17ROCPRIM_304000_NS6detail20lookback_scan_kernelILNS1_25lookback_scan_determinismE0ELb0ENS1_19wrapped_scan_configINS0_14default_configEN3c107complexIfEEEEPKS8_PS8_St4plusIS8_ES8_S8_NS1_19lookback_scan_stateIS8_Lb1ELb1EEEEEvT2_T3_mT5_T4_T7_jPT6_SN_bb
		.amdhsa_group_segment_fixed_size 0
		.amdhsa_private_segment_fixed_size 0
		.amdhsa_kernarg_size 76
		.amdhsa_user_sgpr_count 2
		.amdhsa_user_sgpr_dispatch_ptr 0
		.amdhsa_user_sgpr_queue_ptr 0
		.amdhsa_user_sgpr_kernarg_segment_ptr 1
		.amdhsa_user_sgpr_dispatch_id 0
		.amdhsa_user_sgpr_kernarg_preload_length 0
		.amdhsa_user_sgpr_kernarg_preload_offset 0
		.amdhsa_user_sgpr_private_segment_size 0
		.amdhsa_uses_dynamic_stack 0
		.amdhsa_enable_private_segment 0
		.amdhsa_system_sgpr_workgroup_id_x 1
		.amdhsa_system_sgpr_workgroup_id_y 0
		.amdhsa_system_sgpr_workgroup_id_z 0
		.amdhsa_system_sgpr_workgroup_info 0
		.amdhsa_system_vgpr_workitem_id 0
		.amdhsa_next_free_vgpr 1
		.amdhsa_next_free_sgpr 0
		.amdhsa_accum_offset 4
		.amdhsa_reserve_vcc 0
		.amdhsa_float_round_mode_32 0
		.amdhsa_float_round_mode_16_64 0
		.amdhsa_float_denorm_mode_32 3
		.amdhsa_float_denorm_mode_16_64 3
		.amdhsa_dx10_clamp 1
		.amdhsa_ieee_mode 1
		.amdhsa_fp16_overflow 0
		.amdhsa_tg_split 0
		.amdhsa_exception_fp_ieee_invalid_op 0
		.amdhsa_exception_fp_denorm_src 0
		.amdhsa_exception_fp_ieee_div_zero 0
		.amdhsa_exception_fp_ieee_overflow 0
		.amdhsa_exception_fp_ieee_underflow 0
		.amdhsa_exception_fp_ieee_inexact 0
		.amdhsa_exception_int_div_zero 0
	.end_amdhsa_kernel
	.section	.text._ZN7rocprim17ROCPRIM_304000_NS6detail20lookback_scan_kernelILNS1_25lookback_scan_determinismE0ELb0ENS1_19wrapped_scan_configINS0_14default_configEN3c107complexIfEEEEPKS8_PS8_St4plusIS8_ES8_S8_NS1_19lookback_scan_stateIS8_Lb1ELb1EEEEEvT2_T3_mT5_T4_T7_jPT6_SN_bb,"axG",@progbits,_ZN7rocprim17ROCPRIM_304000_NS6detail20lookback_scan_kernelILNS1_25lookback_scan_determinismE0ELb0ENS1_19wrapped_scan_configINS0_14default_configEN3c107complexIfEEEEPKS8_PS8_St4plusIS8_ES8_S8_NS1_19lookback_scan_stateIS8_Lb1ELb1EEEEEvT2_T3_mT5_T4_T7_jPT6_SN_bb,comdat
.Lfunc_end92:
	.size	_ZN7rocprim17ROCPRIM_304000_NS6detail20lookback_scan_kernelILNS1_25lookback_scan_determinismE0ELb0ENS1_19wrapped_scan_configINS0_14default_configEN3c107complexIfEEEEPKS8_PS8_St4plusIS8_ES8_S8_NS1_19lookback_scan_stateIS8_Lb1ELb1EEEEEvT2_T3_mT5_T4_T7_jPT6_SN_bb, .Lfunc_end92-_ZN7rocprim17ROCPRIM_304000_NS6detail20lookback_scan_kernelILNS1_25lookback_scan_determinismE0ELb0ENS1_19wrapped_scan_configINS0_14default_configEN3c107complexIfEEEEPKS8_PS8_St4plusIS8_ES8_S8_NS1_19lookback_scan_stateIS8_Lb1ELb1EEEEEvT2_T3_mT5_T4_T7_jPT6_SN_bb
                                        ; -- End function
	.set _ZN7rocprim17ROCPRIM_304000_NS6detail20lookback_scan_kernelILNS1_25lookback_scan_determinismE0ELb0ENS1_19wrapped_scan_configINS0_14default_configEN3c107complexIfEEEEPKS8_PS8_St4plusIS8_ES8_S8_NS1_19lookback_scan_stateIS8_Lb1ELb1EEEEEvT2_T3_mT5_T4_T7_jPT6_SN_bb.num_vgpr, 0
	.set _ZN7rocprim17ROCPRIM_304000_NS6detail20lookback_scan_kernelILNS1_25lookback_scan_determinismE0ELb0ENS1_19wrapped_scan_configINS0_14default_configEN3c107complexIfEEEEPKS8_PS8_St4plusIS8_ES8_S8_NS1_19lookback_scan_stateIS8_Lb1ELb1EEEEEvT2_T3_mT5_T4_T7_jPT6_SN_bb.num_agpr, 0
	.set _ZN7rocprim17ROCPRIM_304000_NS6detail20lookback_scan_kernelILNS1_25lookback_scan_determinismE0ELb0ENS1_19wrapped_scan_configINS0_14default_configEN3c107complexIfEEEEPKS8_PS8_St4plusIS8_ES8_S8_NS1_19lookback_scan_stateIS8_Lb1ELb1EEEEEvT2_T3_mT5_T4_T7_jPT6_SN_bb.numbered_sgpr, 0
	.set _ZN7rocprim17ROCPRIM_304000_NS6detail20lookback_scan_kernelILNS1_25lookback_scan_determinismE0ELb0ENS1_19wrapped_scan_configINS0_14default_configEN3c107complexIfEEEEPKS8_PS8_St4plusIS8_ES8_S8_NS1_19lookback_scan_stateIS8_Lb1ELb1EEEEEvT2_T3_mT5_T4_T7_jPT6_SN_bb.num_named_barrier, 0
	.set _ZN7rocprim17ROCPRIM_304000_NS6detail20lookback_scan_kernelILNS1_25lookback_scan_determinismE0ELb0ENS1_19wrapped_scan_configINS0_14default_configEN3c107complexIfEEEEPKS8_PS8_St4plusIS8_ES8_S8_NS1_19lookback_scan_stateIS8_Lb1ELb1EEEEEvT2_T3_mT5_T4_T7_jPT6_SN_bb.private_seg_size, 0
	.set _ZN7rocprim17ROCPRIM_304000_NS6detail20lookback_scan_kernelILNS1_25lookback_scan_determinismE0ELb0ENS1_19wrapped_scan_configINS0_14default_configEN3c107complexIfEEEEPKS8_PS8_St4plusIS8_ES8_S8_NS1_19lookback_scan_stateIS8_Lb1ELb1EEEEEvT2_T3_mT5_T4_T7_jPT6_SN_bb.uses_vcc, 0
	.set _ZN7rocprim17ROCPRIM_304000_NS6detail20lookback_scan_kernelILNS1_25lookback_scan_determinismE0ELb0ENS1_19wrapped_scan_configINS0_14default_configEN3c107complexIfEEEEPKS8_PS8_St4plusIS8_ES8_S8_NS1_19lookback_scan_stateIS8_Lb1ELb1EEEEEvT2_T3_mT5_T4_T7_jPT6_SN_bb.uses_flat_scratch, 0
	.set _ZN7rocprim17ROCPRIM_304000_NS6detail20lookback_scan_kernelILNS1_25lookback_scan_determinismE0ELb0ENS1_19wrapped_scan_configINS0_14default_configEN3c107complexIfEEEEPKS8_PS8_St4plusIS8_ES8_S8_NS1_19lookback_scan_stateIS8_Lb1ELb1EEEEEvT2_T3_mT5_T4_T7_jPT6_SN_bb.has_dyn_sized_stack, 0
	.set _ZN7rocprim17ROCPRIM_304000_NS6detail20lookback_scan_kernelILNS1_25lookback_scan_determinismE0ELb0ENS1_19wrapped_scan_configINS0_14default_configEN3c107complexIfEEEEPKS8_PS8_St4plusIS8_ES8_S8_NS1_19lookback_scan_stateIS8_Lb1ELb1EEEEEvT2_T3_mT5_T4_T7_jPT6_SN_bb.has_recursion, 0
	.set _ZN7rocprim17ROCPRIM_304000_NS6detail20lookback_scan_kernelILNS1_25lookback_scan_determinismE0ELb0ENS1_19wrapped_scan_configINS0_14default_configEN3c107complexIfEEEEPKS8_PS8_St4plusIS8_ES8_S8_NS1_19lookback_scan_stateIS8_Lb1ELb1EEEEEvT2_T3_mT5_T4_T7_jPT6_SN_bb.has_indirect_call, 0
	.section	.AMDGPU.csdata,"",@progbits
; Kernel info:
; codeLenInByte = 4
; TotalNumSgprs: 6
; NumVgprs: 0
; NumAgprs: 0
; TotalNumVgprs: 0
; ScratchSize: 0
; MemoryBound: 0
; FloatMode: 240
; IeeeMode: 1
; LDSByteSize: 0 bytes/workgroup (compile time only)
; SGPRBlocks: 0
; VGPRBlocks: 0
; NumSGPRsForWavesPerEU: 6
; NumVGPRsForWavesPerEU: 1
; AccumOffset: 4
; Occupancy: 8
; WaveLimiterHint : 0
; COMPUTE_PGM_RSRC2:SCRATCH_EN: 0
; COMPUTE_PGM_RSRC2:USER_SGPR: 2
; COMPUTE_PGM_RSRC2:TRAP_HANDLER: 0
; COMPUTE_PGM_RSRC2:TGID_X_EN: 1
; COMPUTE_PGM_RSRC2:TGID_Y_EN: 0
; COMPUTE_PGM_RSRC2:TGID_Z_EN: 0
; COMPUTE_PGM_RSRC2:TIDIG_COMP_CNT: 0
; COMPUTE_PGM_RSRC3_GFX90A:ACCUM_OFFSET: 0
; COMPUTE_PGM_RSRC3_GFX90A:TG_SPLIT: 0
	.section	.text._ZN7rocprim17ROCPRIM_304000_NS6detail20lookback_scan_kernelILNS1_25lookback_scan_determinismE0ELb0ENS1_19wrapped_scan_configINS0_14default_configEN3c107complexIfEEEEPKS8_PS8_St4plusIS8_ES8_S8_NS1_19lookback_scan_stateIS8_Lb0ELb1EEEEEvT2_T3_mT5_T4_T7_jPT6_SN_bb,"axG",@progbits,_ZN7rocprim17ROCPRIM_304000_NS6detail20lookback_scan_kernelILNS1_25lookback_scan_determinismE0ELb0ENS1_19wrapped_scan_configINS0_14default_configEN3c107complexIfEEEEPKS8_PS8_St4plusIS8_ES8_S8_NS1_19lookback_scan_stateIS8_Lb0ELb1EEEEEvT2_T3_mT5_T4_T7_jPT6_SN_bb,comdat
	.protected	_ZN7rocprim17ROCPRIM_304000_NS6detail20lookback_scan_kernelILNS1_25lookback_scan_determinismE0ELb0ENS1_19wrapped_scan_configINS0_14default_configEN3c107complexIfEEEEPKS8_PS8_St4plusIS8_ES8_S8_NS1_19lookback_scan_stateIS8_Lb0ELb1EEEEEvT2_T3_mT5_T4_T7_jPT6_SN_bb ; -- Begin function _ZN7rocprim17ROCPRIM_304000_NS6detail20lookback_scan_kernelILNS1_25lookback_scan_determinismE0ELb0ENS1_19wrapped_scan_configINS0_14default_configEN3c107complexIfEEEEPKS8_PS8_St4plusIS8_ES8_S8_NS1_19lookback_scan_stateIS8_Lb0ELb1EEEEEvT2_T3_mT5_T4_T7_jPT6_SN_bb
	.globl	_ZN7rocprim17ROCPRIM_304000_NS6detail20lookback_scan_kernelILNS1_25lookback_scan_determinismE0ELb0ENS1_19wrapped_scan_configINS0_14default_configEN3c107complexIfEEEEPKS8_PS8_St4plusIS8_ES8_S8_NS1_19lookback_scan_stateIS8_Lb0ELb1EEEEEvT2_T3_mT5_T4_T7_jPT6_SN_bb
	.p2align	8
	.type	_ZN7rocprim17ROCPRIM_304000_NS6detail20lookback_scan_kernelILNS1_25lookback_scan_determinismE0ELb0ENS1_19wrapped_scan_configINS0_14default_configEN3c107complexIfEEEEPKS8_PS8_St4plusIS8_ES8_S8_NS1_19lookback_scan_stateIS8_Lb0ELb1EEEEEvT2_T3_mT5_T4_T7_jPT6_SN_bb,@function
_ZN7rocprim17ROCPRIM_304000_NS6detail20lookback_scan_kernelILNS1_25lookback_scan_determinismE0ELb0ENS1_19wrapped_scan_configINS0_14default_configEN3c107complexIfEEEEPKS8_PS8_St4plusIS8_ES8_S8_NS1_19lookback_scan_stateIS8_Lb0ELb1EEEEEvT2_T3_mT5_T4_T7_jPT6_SN_bb: ; @_ZN7rocprim17ROCPRIM_304000_NS6detail20lookback_scan_kernelILNS1_25lookback_scan_determinismE0ELb0ENS1_19wrapped_scan_configINS0_14default_configEN3c107complexIfEEEEPKS8_PS8_St4plusIS8_ES8_S8_NS1_19lookback_scan_stateIS8_Lb0ELb1EEEEEvT2_T3_mT5_T4_T7_jPT6_SN_bb
; %bb.0:
	s_load_dword s3, s[0:1], 0x30
	s_load_dwordx4 s[8:11], s[0:1], 0x0
	s_load_dwordx2 s[4:5], s[0:1], 0x10
	s_mov_b32 s7, 0
	s_mul_i32 s6, s2, 0x600
	s_waitcnt lgkmcnt(0)
	s_add_i32 s3, s3, -1
	s_mul_i32 s12, s3, 0x600
	s_sub_u32 s20, s4, s12
	s_subb_u32 s21, s5, 0
	s_cmp_lg_u32 s2, s3
	s_cselect_b64 s[16:17], -1, 0
	s_lshl_b64 s[18:19], s[6:7], 3
	s_add_u32 s8, s8, s18
	s_addc_u32 s9, s9, s19
	s_mov_b64 s[4:5], -1
	s_and_b64 vcc, exec, s[16:17]
	v_lshlrev_b32_e32 v26, 3, v0
	s_cbranch_vccz .LBB93_2
; %bb.1:
	v_mov_b32_e32 v27, 0
	v_lshl_add_u64 v[2:3], s[8:9], 0, v[26:27]
	v_add_co_u32_e32 v8, vcc, 0x1000, v2
	global_load_dwordx2 v[4:5], v26, s[8:9]
	global_load_dwordx2 v[6:7], v26, s[8:9] offset:2048
	v_addc_co_u32_e32 v9, vcc, 0, v3, vcc
	v_add_co_u32_e32 v2, vcc, 0x2000, v2
	s_mov_b64 s[4:5], 0
	s_nop 0
	v_addc_co_u32_e32 v3, vcc, 0, v3, vcc
	global_load_dwordx2 v[10:11], v[8:9], off
	global_load_dwordx2 v[12:13], v[8:9], off offset:2048
	global_load_dwordx2 v[14:15], v[2:3], off
	global_load_dwordx2 v[16:17], v[2:3], off offset:2048
	s_waitcnt vmcnt(4)
	ds_write2st64_b64 v26, v[4:5], v[6:7] offset1:4
	s_waitcnt vmcnt(2)
	ds_write2st64_b64 v26, v[10:11], v[12:13] offset0:8 offset1:12
	s_waitcnt vmcnt(0)
	ds_write2st64_b64 v26, v[14:15], v[16:17] offset0:16 offset1:20
	s_waitcnt lgkmcnt(0)
	s_barrier
.LBB93_2:
	s_andn2_b64 vcc, exec, s[4:5]
	v_cmp_gt_u32_e64 s[4:5], s20, v0
	s_cbranch_vccnz .LBB93_16
; %bb.3:
	s_load_dwordx2 s[6:7], s[8:9], 0x0
	v_mov_b32_e32 v27, 0
	v_lshl_add_u64 v[4:5], s[8:9], 0, v[26:27]
	s_waitcnt lgkmcnt(0)
	v_mov_b64_e32 v[2:3], s[6:7]
	s_and_saveexec_b64 s[8:9], s[4:5]
	s_cbranch_execz .LBB93_5
; %bb.4:
	global_load_dwordx2 v[2:3], v[4:5], off
.LBB93_5:
	s_or_b64 exec, exec, s[8:9]
	v_or_b32_e32 v1, 0x100, v0
	v_cmp_gt_u32_e32 vcc, s20, v1
	v_mov_b64_e32 v[6:7], s[6:7]
	s_and_saveexec_b64 s[4:5], vcc
	s_cbranch_execz .LBB93_7
; %bb.6:
	global_load_dwordx2 v[6:7], v[4:5], off offset:2048
.LBB93_7:
	s_or_b64 exec, exec, s[4:5]
	v_or_b32_e32 v1, 0x200, v0
	v_cmp_gt_u32_e32 vcc, s20, v1
	v_mov_b64_e32 v[8:9], s[6:7]
	s_and_saveexec_b64 s[4:5], vcc
	s_cbranch_execz .LBB93_9
; %bb.8:
	v_add_co_u32_e32 v8, vcc, 0x1000, v4
	s_nop 1
	v_addc_co_u32_e32 v9, vcc, 0, v5, vcc
	global_load_dwordx2 v[8:9], v[8:9], off
.LBB93_9:
	s_or_b64 exec, exec, s[4:5]
	v_or_b32_e32 v1, 0x300, v0
	v_cmp_gt_u32_e32 vcc, s20, v1
	v_mov_b64_e32 v[10:11], s[6:7]
	s_and_saveexec_b64 s[4:5], vcc
	s_cbranch_execz .LBB93_11
; %bb.10:
	v_add_co_u32_e32 v10, vcc, 0x1000, v4
	s_nop 1
	v_addc_co_u32_e32 v11, vcc, 0, v5, vcc
	global_load_dwordx2 v[10:11], v[10:11], off offset:2048
.LBB93_11:
	s_or_b64 exec, exec, s[4:5]
	v_or_b32_e32 v1, 0x400, v0
	v_cmp_gt_u32_e32 vcc, s20, v1
	v_mov_b64_e32 v[12:13], s[6:7]
	s_and_saveexec_b64 s[4:5], vcc
	s_cbranch_execz .LBB93_13
; %bb.12:
	v_add_co_u32_e32 v12, vcc, 0x2000, v4
	s_nop 1
	v_addc_co_u32_e32 v13, vcc, 0, v5, vcc
	global_load_dwordx2 v[12:13], v[12:13], off
.LBB93_13:
	s_or_b64 exec, exec, s[4:5]
	v_or_b32_e32 v1, 0x500, v0
	v_cmp_gt_u32_e32 vcc, s20, v1
	v_mov_b64_e32 v[14:15], s[6:7]
	s_and_saveexec_b64 s[4:5], vcc
	s_cbranch_execz .LBB93_15
; %bb.14:
	v_add_co_u32_e32 v4, vcc, 0x2000, v4
	s_nop 1
	v_addc_co_u32_e32 v5, vcc, 0, v5, vcc
	global_load_dwordx2 v[14:15], v[4:5], off offset:2048
.LBB93_15:
	s_or_b64 exec, exec, s[4:5]
	s_waitcnt vmcnt(0)
	ds_write2st64_b64 v26, v[2:3], v[6:7] offset1:4
	ds_write2st64_b64 v26, v[8:9], v[10:11] offset0:8 offset1:12
	ds_write2st64_b64 v26, v[12:13], v[14:15] offset0:16 offset1:20
	s_waitcnt lgkmcnt(0)
	s_barrier
.LBB93_16:
	v_mul_u32_u24_e32 v1, 48, v0
	ds_read_b128 v[6:9], v1
	ds_read_b128 v[10:13], v1 offset:16
	ds_read_b128 v[2:5], v1 offset:32
	s_load_dwordx2 s[8:9], s[0:1], 0x28
	s_cmp_lg_u32 s2, 0
	v_mbcnt_lo_u32_b32 v35, -1, 0
	v_lshrrev_b32_e32 v27, 6, v0
	v_or_b32_e32 v34, 63, v0
	s_waitcnt lgkmcnt(0)
	s_barrier
	s_cbranch_scc0 .LBB93_38
; %bb.17:
	v_pk_add_f32 v[14:15], v[8:9], v[6:7]
	v_mbcnt_hi_u32_b32 v25, -1, v35
	v_pk_add_f32 v[14:15], v[14:15], v[10:11]
	v_and_b32_e32 v18, 15, v25
	v_pk_add_f32 v[14:15], v[14:15], v[12:13]
	v_cmp_eq_u32_e32 vcc, 0, v18
	v_pk_add_f32 v[14:15], v[14:15], v[2:3]
	v_cmp_lt_u32_e64 s[4:5], 31, v25
	v_pk_add_f32 v[14:15], v[4:5], v[14:15]
	s_nop 1
	v_mov_b32_dpp v16, v14 row_shr:1 row_mask:0xf bank_mask:0xf
	v_mov_b32_dpp v17, v15 row_shr:1 row_mask:0xf bank_mask:0xf
	v_pk_add_f32 v[16:17], v[14:15], v[16:17]
	s_nop 0
	v_cndmask_b32_e32 v15, v17, v15, vcc
	v_cndmask_b32_e32 v14, v16, v14, vcc
	v_cmp_lt_u32_e32 vcc, 1, v18
	v_mov_b32_dpp v17, v15 row_shr:2 row_mask:0xf bank_mask:0xf
	v_mov_b32_dpp v16, v14 row_shr:2 row_mask:0xf bank_mask:0xf
	v_pk_add_f32 v[16:17], v[14:15], v[16:17]
	s_nop 0
	v_cndmask_b32_e32 v15, v15, v17, vcc
	v_cndmask_b32_e32 v14, v14, v16, vcc
	v_cmp_lt_u32_e32 vcc, 3, v18
	v_mov_b32_dpp v17, v15 row_shr:4 row_mask:0xf bank_mask:0xf
	v_mov_b32_dpp v16, v14 row_shr:4 row_mask:0xf bank_mask:0xf
	v_pk_add_f32 v[16:17], v[14:15], v[16:17]
	s_nop 0
	v_cndmask_b32_e32 v15, v15, v17, vcc
	v_cndmask_b32_e32 v14, v14, v16, vcc
	v_cmp_lt_u32_e32 vcc, 7, v18
	v_mov_b32_dpp v17, v15 row_shr:8 row_mask:0xf bank_mask:0xf
	v_mov_b32_dpp v16, v14 row_shr:8 row_mask:0xf bank_mask:0xf
	v_pk_add_f32 v[16:17], v[14:15], v[16:17]
	v_and_b32_e32 v18, 16, v25
	v_cndmask_b32_e32 v15, v15, v17, vcc
	v_cndmask_b32_e32 v14, v14, v16, vcc
	v_cmp_eq_u32_e32 vcc, 0, v18
	v_mov_b32_dpp v17, v15 row_bcast:15 row_mask:0xf bank_mask:0xf
	v_mov_b32_dpp v16, v14 row_bcast:15 row_mask:0xf bank_mask:0xf
	v_pk_add_f32 v[16:17], v[14:15], v[16:17]
	s_nop 0
	v_cndmask_b32_e32 v15, v17, v15, vcc
	v_cndmask_b32_e32 v14, v16, v14, vcc
	v_cmp_eq_u32_e32 vcc, v0, v34
	v_mov_b32_dpp v17, v15 row_bcast:31 row_mask:0xf bank_mask:0xf
	v_mov_b32_dpp v16, v14 row_bcast:31 row_mask:0xf bank_mask:0xf
	v_pk_add_f32 v[16:17], v[14:15], v[16:17]
	s_nop 0
	v_cndmask_b32_e64 v15, v15, v17, s[4:5]
	v_cndmask_b32_e64 v14, v14, v16, s[4:5]
	s_and_saveexec_b64 s[4:5], vcc
; %bb.18:
	v_lshlrev_b32_e32 v16, 3, v27
	ds_write_b64 v16, v[14:15]
; %bb.19:
	s_or_b64 exec, exec, s[4:5]
	v_cmp_gt_u32_e32 vcc, 4, v0
	s_waitcnt lgkmcnt(0)
	s_barrier
	s_and_saveexec_b64 s[4:5], vcc
	s_cbranch_execz .LBB93_21
; %bb.20:
	ds_read_b64 v[16:17], v26
	v_and_b32_e32 v20, 3, v25
	v_cmp_eq_u32_e32 vcc, 0, v20
	s_waitcnt lgkmcnt(0)
	v_mov_b32_dpp v18, v16 row_shr:1 row_mask:0xf bank_mask:0xf
	v_mov_b32_dpp v19, v17 row_shr:1 row_mask:0xf bank_mask:0xf
	v_pk_add_f32 v[18:19], v[16:17], v[18:19]
	s_nop 0
	v_cndmask_b32_e32 v17, v19, v17, vcc
	v_cndmask_b32_e32 v16, v18, v16, vcc
	v_cmp_lt_u32_e32 vcc, 1, v20
	v_mov_b32_dpp v19, v17 row_shr:2 row_mask:0xf bank_mask:0xf
	v_mov_b32_dpp v18, v16 row_shr:2 row_mask:0xf bank_mask:0xf
	v_pk_add_f32 v[18:19], v[16:17], v[18:19]
	s_nop 0
	v_cndmask_b32_e32 v17, v17, v19, vcc
	v_cndmask_b32_e32 v16, v16, v18, vcc
	ds_write_b64 v26, v[16:17]
.LBB93_21:
	s_or_b64 exec, exec, s[4:5]
	v_cmp_gt_u32_e32 vcc, 64, v0
	v_cmp_lt_u32_e64 s[4:5], 63, v0
	v_mov_b32_e32 v22, 0
	v_mov_b32_e32 v23, 0
	s_waitcnt lgkmcnt(0)
	s_barrier
	s_and_saveexec_b64 s[6:7], s[4:5]
	s_cbranch_execz .LBB93_23
; %bb.22:
	v_lshl_add_u32 v16, v27, 3, -8
	ds_read_b64 v[22:23], v16
	s_waitcnt lgkmcnt(0)
	v_pk_add_f32 v[14:15], v[14:15], v[22:23]
.LBB93_23:
	s_or_b64 exec, exec, s[6:7]
	v_subrev_co_u32_e64 v16, s[4:5], 1, v25
	v_and_b32_e32 v17, 0xffffffc0, v25
	v_cmp_lt_i32_e64 s[6:7], v16, v17
	s_nop 1
	v_cndmask_b32_e64 v16, v16, v25, s[6:7]
	v_lshlrev_b32_e32 v16, 2, v16
	ds_bpermute_b32 v36, v16, v14
	ds_bpermute_b32 v37, v16, v15
	s_and_saveexec_b64 s[6:7], vcc
	s_cbranch_execz .LBB93_43
; %bb.24:
	v_mov_b32_e32 v17, 0
	ds_read_b64 v[14:15], v17 offset:24
	s_and_saveexec_b64 s[12:13], s[4:5]
	s_cbranch_execz .LBB93_26
; %bb.25:
	s_add_i32 s14, s2, 64
	s_mov_b32 s15, 0
	s_lshl_b64 s[14:15], s[14:15], 4
	s_add_u32 s14, s8, s14
	s_addc_u32 s15, s9, s15
	v_mov_b32_e32 v16, 1
	v_mov_b64_e32 v[18:19], s[14:15]
	s_waitcnt lgkmcnt(0)
	;;#ASMSTART
	global_store_dwordx4 v[18:19], v[14:17] off sc1	
s_waitcnt vmcnt(0)
	;;#ASMEND
.LBB93_26:
	s_or_b64 exec, exec, s[12:13]
	v_xad_u32 v24, v25, -1, s2
	v_add_u32_e32 v16, 64, v24
	v_lshl_add_u64 v[30:31], v[16:17], 4, s[8:9]
	;;#ASMSTART
	global_load_dwordx4 v[18:21], v[30:31] off sc1	
s_waitcnt vmcnt(0)
	;;#ASMEND
	s_nop 0
	v_mov_b32_e32 v28, v19
	v_mov_b32_e32 v29, v18
	v_cmp_eq_u16_sdwa s[14:15], v20, v17 src0_sel:BYTE_0 src1_sel:DWORD
	s_and_saveexec_b64 s[12:13], s[14:15]
	s_cbranch_execz .LBB93_30
; %bb.27:
	s_mov_b64 s[14:15], 0
	v_mov_b32_e32 v16, 0
.LBB93_28:                              ; =>This Inner Loop Header: Depth=1
	;;#ASMSTART
	global_load_dwordx4 v[18:21], v[30:31] off sc1	
s_waitcnt vmcnt(0)
	;;#ASMEND
	s_nop 0
	v_cmp_ne_u16_sdwa s[22:23], v20, v16 src0_sel:BYTE_0 src1_sel:DWORD
	s_or_b64 s[14:15], s[22:23], s[14:15]
	s_andn2_b64 exec, exec, s[14:15]
	s_cbranch_execnz .LBB93_28
; %bb.29:
	s_or_b64 exec, exec, s[14:15]
	v_mov_b32_e32 v28, v19
	v_mov_b32_e32 v29, v18
.LBB93_30:
	s_or_b64 exec, exec, s[12:13]
	v_and_b32_e32 v31, 63, v25
	v_cmp_ne_u32_e32 vcc, 63, v31
	v_mov_b32_e32 v38, 2
	v_cmp_eq_u16_sdwa s[12:13], v20, v38 src0_sel:BYTE_0 src1_sel:DWORD
	v_addc_co_u32_e32 v32, vcc, 0, v25, vcc
	v_lshlrev_b64 v[16:17], v25, -1
	v_lshlrev_b32_e32 v39, 2, v32
	v_and_b32_e32 v21, s13, v17
	ds_bpermute_b32 v33, v39, v18
	ds_bpermute_b32 v32, v39, v19
	v_or_b32_e32 v21, 0x80000000, v21
	v_and_b32_e32 v30, s12, v16
	v_ffbl_b32_e32 v21, v21
	v_add_u32_e32 v18, 32, v21
	v_ffbl_b32_e32 v19, v30
	v_min_u32_e32 v21, v19, v18
	v_add_u32_e32 v40, 1, v25
	s_waitcnt lgkmcnt(0)
	v_pk_add_f32 v[18:19], v[28:29], v[32:33]
	v_cmp_gt_u32_e32 vcc, v40, v21
	v_add_u32_e32 v42, 2, v25
	v_add_u32_e32 v44, 4, v25
	v_cndmask_b32_e32 v19, v19, v29, vcc
	v_cndmask_b32_e32 v18, v18, v28, vcc
	v_cmp_gt_u32_e32 vcc, 62, v31
	v_add_u32_e32 v46, 8, v25
	v_add_u32_e32 v48, 16, v25
	v_cndmask_b32_e64 v28, 0, 2, vcc
	v_add_lshl_u32 v41, v28, v25, 2
	ds_bpermute_b32 v29, v41, v19
	ds_bpermute_b32 v28, v41, v18
	v_cmp_gt_u32_e32 vcc, v42, v21
	v_add_u32_e32 v50, 32, v25
	s_waitcnt lgkmcnt(0)
	v_pk_add_f32 v[28:29], v[18:19], v[28:29]
	s_nop 0
	v_cndmask_b32_e32 v19, v29, v19, vcc
	v_cndmask_b32_e32 v18, v28, v18, vcc
	v_cmp_gt_u32_e32 vcc, 60, v31
	s_nop 1
	v_cndmask_b32_e64 v28, 0, 4, vcc
	v_add_lshl_u32 v43, v28, v25, 2
	ds_bpermute_b32 v29, v43, v19
	ds_bpermute_b32 v28, v43, v18
	v_cmp_gt_u32_e32 vcc, v44, v21
	s_waitcnt lgkmcnt(0)
	v_pk_add_f32 v[28:29], v[18:19], v[28:29]
	s_nop 0
	v_cndmask_b32_e32 v19, v29, v19, vcc
	v_cndmask_b32_e32 v18, v28, v18, vcc
	v_cmp_gt_u32_e32 vcc, 56, v31
	s_nop 1
	v_cndmask_b32_e64 v28, 0, 8, vcc
	v_add_lshl_u32 v45, v28, v25, 2
	ds_bpermute_b32 v29, v45, v19
	ds_bpermute_b32 v28, v45, v18
	v_cmp_gt_u32_e32 vcc, v46, v21
	;; [unrolled: 12-line block ×3, first 2 shown]
	s_waitcnt lgkmcnt(0)
	v_pk_add_f32 v[28:29], v[18:19], v[28:29]
	s_nop 0
	v_cndmask_b32_e32 v18, v28, v18, vcc
	v_mov_b32_e32 v28, 0x80
	v_cndmask_b32_e32 v19, v29, v19, vcc
	v_lshl_or_b32 v49, v25, 2, v28
	ds_bpermute_b32 v29, v49, v19
	ds_bpermute_b32 v28, v49, v18
	v_cmp_gt_u32_e32 vcc, v50, v21
	v_mov_b32_e32 v25, 0
	s_waitcnt lgkmcnt(0)
	v_pk_add_f32 v[28:29], v[18:19], v[28:29]
	s_nop 0
	v_cndmask_b32_e32 v19, v29, v19, vcc
	v_cndmask_b32_e32 v18, v28, v18, vcc
	s_branch .LBB93_34
.LBB93_31:                              ;   in Loop: Header=BB93_34 Depth=1
	s_or_b64 exec, exec, s[14:15]
	v_mov_b32_e32 v30, v19
	v_mov_b32_e32 v31, v18
.LBB93_32:                              ;   in Loop: Header=BB93_34 Depth=1
	s_or_b64 exec, exec, s[12:13]
	v_cmp_eq_u16_sdwa s[12:13], v20, v38 src0_sel:BYTE_0 src1_sel:DWORD
	ds_bpermute_b32 v33, v39, v18
	ds_bpermute_b32 v32, v39, v19
	v_and_b32_e32 v21, s13, v17
	v_or_b32_e32 v21, 0x80000000, v21
	v_and_b32_e32 v51, s12, v16
	v_ffbl_b32_e32 v18, v21
	v_add_u32_e32 v18, 32, v18
	v_ffbl_b32_e32 v19, v51
	v_min_u32_e32 v21, v19, v18
	s_waitcnt lgkmcnt(0)
	v_pk_add_f32 v[18:19], v[30:31], v[32:33]
	v_cmp_gt_u32_e32 vcc, v40, v21
	v_subrev_u32_e32 v24, 64, v24
	s_mov_b64 s[12:13], 0
	v_cndmask_b32_e32 v19, v19, v31, vcc
	v_cndmask_b32_e32 v18, v18, v30, vcc
	ds_bpermute_b32 v31, v41, v19
	ds_bpermute_b32 v30, v41, v18
	v_cmp_gt_u32_e32 vcc, v42, v21
	s_waitcnt lgkmcnt(0)
	v_pk_add_f32 v[30:31], v[18:19], v[30:31]
	s_nop 0
	v_cndmask_b32_e32 v19, v31, v19, vcc
	v_cndmask_b32_e32 v18, v30, v18, vcc
	ds_bpermute_b32 v31, v43, v19
	ds_bpermute_b32 v30, v43, v18
	v_cmp_gt_u32_e32 vcc, v44, v21
	s_waitcnt lgkmcnt(0)
	v_pk_add_f32 v[30:31], v[18:19], v[30:31]
	s_nop 0
	;; [unrolled: 8-line block ×5, first 2 shown]
	v_cndmask_b32_e32 v19, v31, v19, vcc
	v_cndmask_b32_e32 v18, v30, v18, vcc
	v_pk_add_f32 v[18:19], v[28:29], v[18:19]
.LBB93_33:                              ;   in Loop: Header=BB93_34 Depth=1
	s_and_b64 vcc, exec, s[12:13]
	s_cbranch_vccnz .LBB93_39
.LBB93_34:                              ; =>This Loop Header: Depth=1
                                        ;     Child Loop BB93_37 Depth 2
	v_cmp_ne_u16_sdwa s[12:13], v20, v38 src0_sel:BYTE_0 src1_sel:DWORD
	v_mov_b64_e32 v[28:29], v[18:19]
	s_cmp_lg_u64 s[12:13], exec
	s_mov_b64 s[12:13], -1
                                        ; implicit-def: $vgpr18_vgpr19
                                        ; implicit-def: $vgpr20
	s_cbranch_scc1 .LBB93_33
; %bb.35:                               ;   in Loop: Header=BB93_34 Depth=1
	v_lshl_add_u64 v[32:33], v[24:25], 4, s[8:9]
	;;#ASMSTART
	global_load_dwordx4 v[18:21], v[32:33] off sc1	
s_waitcnt vmcnt(0)
	;;#ASMEND
	s_nop 0
	v_mov_b32_e32 v30, v19
	v_mov_b32_e32 v31, v18
	v_cmp_eq_u16_sdwa s[14:15], v20, v25 src0_sel:BYTE_0 src1_sel:DWORD
	s_and_saveexec_b64 s[12:13], s[14:15]
	s_cbranch_execz .LBB93_32
; %bb.36:                               ;   in Loop: Header=BB93_34 Depth=1
	s_mov_b64 s[14:15], 0
.LBB93_37:                              ;   Parent Loop BB93_34 Depth=1
                                        ; =>  This Inner Loop Header: Depth=2
	;;#ASMSTART
	global_load_dwordx4 v[18:21], v[32:33] off sc1	
s_waitcnt vmcnt(0)
	;;#ASMEND
	s_nop 0
	v_cmp_ne_u16_sdwa s[22:23], v20, v25 src0_sel:BYTE_0 src1_sel:DWORD
	s_or_b64 s[14:15], s[22:23], s[14:15]
	s_andn2_b64 exec, exec, s[14:15]
	s_cbranch_execnz .LBB93_37
	s_branch .LBB93_31
.LBB93_38:
                                        ; implicit-def: $vgpr18_vgpr19
                                        ; implicit-def: $vgpr16_vgpr17
                                        ; implicit-def: $vgpr22_vgpr23
	s_load_dwordx4 s[12:15], s[0:1], 0x38
	s_cbranch_execnz .LBB93_44
	s_branch .LBB93_57
.LBB93_39:
	s_and_saveexec_b64 s[12:13], s[4:5]
	s_cbranch_execz .LBB93_41
; %bb.40:
	s_add_i32 s2, s2, 64
	s_mov_b32 s3, 0
	s_lshl_b64 s[2:3], s[2:3], 4
	s_add_u32 s2, s8, s2
	s_addc_u32 s3, s9, s3
	v_add_f32_e32 v14, v29, v14
	v_add_f32_e32 v15, v28, v15
	v_mov_b32_e32 v16, 2
	v_mov_b32_e32 v17, 0
	v_mov_b64_e32 v[18:19], s[2:3]
	;;#ASMSTART
	global_store_dwordx4 v[18:19], v[14:17] off sc1	
s_waitcnt vmcnt(0)
	;;#ASMEND
.LBB93_41:
	s_or_b64 exec, exec, s[12:13]
	v_cmp_eq_u32_e32 vcc, 0, v0
	s_and_b64 exec, exec, vcc
; %bb.42:
	v_pk_mov_b32 v[14:15], v[28:29], v[28:29] op_sel:[1,0]
	v_mov_b32_e32 v16, 0
	ds_write_b64 v16, v[14:15] offset:24
.LBB93_43:
	s_or_b64 exec, exec, s[6:7]
	v_mov_b32_e32 v16, 0
	s_waitcnt lgkmcnt(0)
	s_barrier
	ds_read_b64 v[16:17], v16 offset:24
	v_cndmask_b32_e64 v15, v37, v23, s[4:5]
	v_cndmask_b32_e64 v14, v36, v22, s[4:5]
	v_pk_add_f32 v[14:15], v[6:7], v[14:15]
	v_cmp_eq_u32_e32 vcc, 0, v0
	s_nop 1
	v_cndmask_b32_e32 v15, v15, v7, vcc
	v_cndmask_b32_e32 v14, v14, v6, vcc
	s_waitcnt lgkmcnt(0)
	v_pk_add_f32 v[18:19], v[14:15], v[16:17]
	s_nop 0
	v_pk_add_f32 v[20:21], v[18:19], v[8:9]
	s_nop 0
	;; [unrolled: 2-line block ×4, first 2 shown]
	v_pk_add_f32 v[22:23], v[16:17], v[2:3]
	s_load_dwordx4 s[12:15], s[0:1], 0x38
	s_branch .LBB93_57
.LBB93_44:
	s_load_dword s4, s[0:1], 0x48
	v_cmp_eq_u32_e32 vcc, 0, v0
	v_cmp_ne_u32_e64 s[2:3], 0, v0
	s_waitcnt lgkmcnt(0)
	s_bitcmp1_b32 s4, 0
	s_cselect_b64 s[4:5], -1, 0
	s_and_b64 s[6:7], vcc, s[4:5]
	s_and_saveexec_b64 s[4:5], s[6:7]
	s_cbranch_execz .LBB93_46
; %bb.45:
	v_mov_b32_e32 v14, 0
	global_load_dwordx2 v[14:15], v14, s[12:13]
	s_waitcnt vmcnt(0)
	v_add_f32_e32 v6, v6, v14
	v_add_f32_e32 v7, v7, v15
.LBB93_46:
	s_or_b64 exec, exec, s[4:5]
	v_pk_add_f32 v[20:21], v[8:9], v[6:7]
	v_mbcnt_hi_u32_b32 v28, -1, v35
	v_pk_add_f32 v[14:15], v[20:21], v[10:11]
	v_and_b32_e32 v29, 15, v28
	v_pk_add_f32 v[16:17], v[14:15], v[12:13]
	v_cmp_eq_u32_e64 s[4:5], 0, v29
	v_pk_add_f32 v[22:23], v[16:17], v[2:3]
	v_cmp_lt_u32_e64 s[6:7], 31, v28
	v_pk_add_f32 v[18:19], v[4:5], v[22:23]
	s_nop 1
	v_mov_b32_dpp v24, v18 row_shr:1 row_mask:0xf bank_mask:0xf
	v_mov_b32_dpp v25, v19 row_shr:1 row_mask:0xf bank_mask:0xf
	v_pk_add_f32 v[24:25], v[18:19], v[24:25]
	s_nop 0
	v_cndmask_b32_e64 v19, v25, v19, s[4:5]
	v_cndmask_b32_e64 v18, v24, v18, s[4:5]
	v_cmp_lt_u32_e64 s[4:5], 1, v29
	v_mov_b32_dpp v25, v19 row_shr:2 row_mask:0xf bank_mask:0xf
	v_mov_b32_dpp v24, v18 row_shr:2 row_mask:0xf bank_mask:0xf
	v_pk_add_f32 v[24:25], v[18:19], v[24:25]
	s_nop 0
	v_cndmask_b32_e64 v19, v19, v25, s[4:5]
	v_cndmask_b32_e64 v18, v18, v24, s[4:5]
	v_cmp_lt_u32_e64 s[4:5], 3, v29
	;; [unrolled: 7-line block ×3, first 2 shown]
	v_mov_b32_dpp v25, v19 row_shr:8 row_mask:0xf bank_mask:0xf
	v_mov_b32_dpp v24, v18 row_shr:8 row_mask:0xf bank_mask:0xf
	v_pk_add_f32 v[24:25], v[18:19], v[24:25]
	v_and_b32_e32 v29, 16, v28
	v_cndmask_b32_e64 v19, v19, v25, s[4:5]
	v_cndmask_b32_e64 v18, v18, v24, s[4:5]
	v_cmp_eq_u32_e64 s[4:5], 0, v29
	v_mov_b32_dpp v25, v19 row_bcast:15 row_mask:0xf bank_mask:0xf
	v_mov_b32_dpp v24, v18 row_bcast:15 row_mask:0xf bank_mask:0xf
	v_pk_add_f32 v[24:25], v[18:19], v[24:25]
	s_nop 0
	v_cndmask_b32_e64 v19, v25, v19, s[4:5]
	v_cndmask_b32_e64 v18, v24, v18, s[4:5]
	v_cmp_eq_u32_e64 s[4:5], v0, v34
	v_mov_b32_dpp v25, v19 row_bcast:31 row_mask:0xf bank_mask:0xf
	v_mov_b32_dpp v24, v18 row_bcast:31 row_mask:0xf bank_mask:0xf
	v_pk_add_f32 v[24:25], v[18:19], v[24:25]
	s_nop 0
	v_cndmask_b32_e64 v19, v19, v25, s[6:7]
	v_cndmask_b32_e64 v18, v18, v24, s[6:7]
	s_and_saveexec_b64 s[6:7], s[4:5]
; %bb.47:
	v_lshlrev_b32_e32 v24, 3, v27
	ds_write_b64 v24, v[18:19]
; %bb.48:
	s_or_b64 exec, exec, s[6:7]
	v_cmp_gt_u32_e64 s[4:5], 4, v0
	s_waitcnt lgkmcnt(0)
	s_barrier
	s_and_saveexec_b64 s[6:7], s[4:5]
	s_cbranch_execz .LBB93_50
; %bb.49:
	s_movk_i32 s4, 0xffd8
	v_mad_i32_i24 v29, v0, s4, v1
	ds_read_b64 v[24:25], v29
	v_and_b32_e32 v32, 3, v28
	v_cmp_eq_u32_e64 s[4:5], 0, v32
	s_waitcnt lgkmcnt(0)
	v_mov_b32_dpp v30, v24 row_shr:1 row_mask:0xf bank_mask:0xf
	v_mov_b32_dpp v31, v25 row_shr:1 row_mask:0xf bank_mask:0xf
	v_pk_add_f32 v[30:31], v[24:25], v[30:31]
	s_nop 0
	v_cndmask_b32_e64 v25, v31, v25, s[4:5]
	v_cndmask_b32_e64 v24, v30, v24, s[4:5]
	v_cmp_lt_u32_e64 s[4:5], 1, v32
	v_mov_b32_dpp v31, v25 row_shr:2 row_mask:0xf bank_mask:0xf
	v_mov_b32_dpp v30, v24 row_shr:2 row_mask:0xf bank_mask:0xf
	v_pk_add_f32 v[30:31], v[24:25], v[30:31]
	s_nop 0
	v_cndmask_b32_e64 v25, v25, v31, s[4:5]
	v_cndmask_b32_e64 v24, v24, v30, s[4:5]
	ds_write_b64 v29, v[24:25]
.LBB93_50:
	s_or_b64 exec, exec, s[6:7]
	v_cmp_lt_u32_e64 s[4:5], 63, v0
	v_mov_b32_e32 v24, 0
	v_mov_b32_e32 v25, 0
	s_waitcnt lgkmcnt(0)
	s_barrier
	s_and_saveexec_b64 s[6:7], s[4:5]
	s_cbranch_execz .LBB93_52
; %bb.51:
	v_lshl_add_u32 v24, v27, 3, -8
	ds_read_b64 v[24:25], v24
	s_waitcnt lgkmcnt(0)
	v_pk_add_f32 v[18:19], v[18:19], v[24:25]
.LBB93_52:
	s_or_b64 exec, exec, s[6:7]
	v_add_u32_e32 v27, -1, v28
	v_and_b32_e32 v29, 0xffffffc0, v28
	v_cmp_lt_i32_e64 s[4:5], v27, v29
	s_nop 1
	v_cndmask_b32_e64 v27, v27, v28, s[4:5]
	v_lshlrev_b32_e32 v27, 2, v27
	ds_bpermute_b32 v18, v27, v18
	ds_bpermute_b32 v19, v27, v19
	s_and_saveexec_b64 s[4:5], s[2:3]
	s_cbranch_execz .LBB93_54
; %bb.53:
	v_cmp_eq_u32_e64 s[2:3], 0, v28
	s_waitcnt lgkmcnt(0)
	s_nop 0
	v_cndmask_b32_e64 v15, v19, v25, s[2:3]
	v_cndmask_b32_e64 v14, v18, v24, s[2:3]
	v_pk_add_f32 v[6:7], v[6:7], v[14:15]
	s_nop 0
	v_pk_add_f32 v[20:21], v[6:7], v[8:9]
	s_nop 0
	;; [unrolled: 2-line block ×4, first 2 shown]
	v_pk_add_f32 v[22:23], v[16:17], v[2:3]
.LBB93_54:
	s_or_b64 exec, exec, s[4:5]
	s_and_saveexec_b64 s[2:3], vcc
	s_cbranch_execz .LBB93_56
; %bb.55:
	s_add_u32 s4, s8, 0x400
	v_mov_b32_e32 v11, 0
	s_addc_u32 s5, s9, 0
	ds_read_b64 v[8:9], v11 offset:24
	v_mov_b32_e32 v10, 2
	v_mov_b64_e32 v[2:3], s[4:5]
	s_waitcnt lgkmcnt(0)
	;;#ASMSTART
	global_store_dwordx4 v[2:3], v[8:11] off sc1	
s_waitcnt vmcnt(0)
	;;#ASMEND
.LBB93_56:
	s_or_b64 exec, exec, s[2:3]
	s_waitcnt lgkmcnt(0)
	v_mov_b64_e32 v[18:19], v[6:7]
.LBB93_57:
	s_add_u32 s2, s10, s18
	v_pk_add_f32 v[24:25], v[4:5], v[22:23]
	s_addc_u32 s3, s11, s19
	s_mov_b64 s[4:5], -1
	s_and_b64 vcc, exec, s[16:17]
	s_waitcnt lgkmcnt(0)
	s_barrier
	s_cbranch_vccz .LBB93_59
; %bb.58:
	s_movk_i32 s4, 0xffd8
	v_mad_i32_i24 v10, v0, s4, v1
	ds_write_b128 v1, v[18:21]
	ds_write_b128 v1, v[14:17] offset:16
	ds_write_b128 v1, v[22:25] offset:32
	s_waitcnt lgkmcnt(0)
	s_barrier
	ds_read2st64_b64 v[2:5], v10 offset1:4
	ds_read2st64_b64 v[6:9], v10 offset0:8 offset1:12
	ds_read2st64_b64 v[10:13], v10 offset0:16 offset1:20
	v_mov_b32_e32 v27, 0
	v_lshl_add_u64 v[28:29], s[2:3], 0, v[26:27]
	s_waitcnt lgkmcnt(2)
	global_store_dwordx2 v26, v[2:3], s[2:3]
	global_store_dwordx2 v26, v[4:5], s[2:3] offset:2048
	v_add_co_u32_e32 v2, vcc, 0x1000, v28
	s_mov_b64 s[4:5], 0
	s_nop 0
	v_addc_co_u32_e32 v3, vcc, 0, v29, vcc
	s_waitcnt lgkmcnt(1)
	global_store_dwordx2 v[2:3], v[6:7], off
	global_store_dwordx2 v[2:3], v[8:9], off offset:2048
	v_add_co_u32_e32 v2, vcc, 0x2000, v28
	s_nop 1
	v_addc_co_u32_e32 v3, vcc, 0, v29, vcc
	s_waitcnt lgkmcnt(0)
	global_store_dwordx2 v[2:3], v[10:11], off
	global_store_dwordx2 v[2:3], v[12:13], off offset:2048
.LBB93_59:
	s_andn2_b64 vcc, exec, s[4:5]
	s_cbranch_vccnz .LBB93_92
; %bb.60:
	s_movk_i32 s4, 0xffd8
	ds_write_b128 v1, v[18:21]
	ds_write_b128 v1, v[14:17] offset:16
	ds_write_b128 v1, v[22:25] offset:32
	v_mad_i32_i24 v1, v0, s4, v1
	s_waitcnt lgkmcnt(0)
	s_barrier
	ds_read2st64_b64 v[4:7], v1 offset1:4
	ds_read2st64_b64 v[8:11], v1 offset0:8 offset1:12
	ds_read2st64_b64 v[12:15], v1 offset0:16 offset1:20
	v_mov_b32_e32 v27, 0
	v_lshl_add_u64 v[2:3], s[2:3], 0, v[26:27]
	v_cmp_gt_u32_e32 vcc, s20, v0
	s_and_saveexec_b64 s[2:3], vcc
	s_cbranch_execz .LBB93_62
; %bb.61:
	s_waitcnt lgkmcnt(2)
	global_store_dwordx2 v[2:3], v[4:5], off
.LBB93_62:
	s_or_b64 exec, exec, s[2:3]
	v_or_b32_e32 v1, 0x100, v0
	v_cmp_gt_u32_e32 vcc, s20, v1
	s_and_saveexec_b64 s[2:3], vcc
	s_cbranch_execz .LBB93_64
; %bb.63:
	s_waitcnt lgkmcnt(2)
	global_store_dwordx2 v[2:3], v[6:7], off offset:2048
.LBB93_64:
	s_or_b64 exec, exec, s[2:3]
	v_or_b32_e32 v1, 0x200, v0
	v_cmp_gt_u32_e32 vcc, s20, v1
	s_and_saveexec_b64 s[2:3], vcc
	s_cbranch_execz .LBB93_66
; %bb.65:
	v_add_co_u32_e32 v16, vcc, 0x1000, v2
	s_nop 1
	v_addc_co_u32_e32 v17, vcc, 0, v3, vcc
	s_waitcnt lgkmcnt(1)
	global_store_dwordx2 v[16:17], v[8:9], off
.LBB93_66:
	s_or_b64 exec, exec, s[2:3]
	v_or_b32_e32 v1, 0x300, v0
	v_cmp_gt_u32_e32 vcc, s20, v1
	s_and_saveexec_b64 s[2:3], vcc
	s_cbranch_execz .LBB93_68
; %bb.67:
	v_add_co_u32_e32 v16, vcc, 0x1000, v2
	s_nop 1
	v_addc_co_u32_e32 v17, vcc, 0, v3, vcc
	s_waitcnt lgkmcnt(1)
	global_store_dwordx2 v[16:17], v[10:11], off offset:2048
.LBB93_68:
	s_or_b64 exec, exec, s[2:3]
	v_or_b32_e32 v1, 0x400, v0
	v_cmp_gt_u32_e32 vcc, s20, v1
	s_and_saveexec_b64 s[2:3], vcc
	s_cbranch_execz .LBB93_70
; %bb.69:
	v_add_co_u32_e32 v16, vcc, 0x2000, v2
	s_nop 1
	v_addc_co_u32_e32 v17, vcc, 0, v3, vcc
	s_waitcnt lgkmcnt(0)
	global_store_dwordx2 v[16:17], v[12:13], off
.LBB93_70:
	s_or_b64 exec, exec, s[2:3]
	v_or_b32_e32 v1, 0x500, v0
	v_cmp_gt_u32_e32 vcc, s20, v1
	s_and_saveexec_b64 s[2:3], vcc
	s_cbranch_execz .LBB93_72
; %bb.71:
	v_add_co_u32_e32 v2, vcc, 0x2000, v2
	s_nop 1
	v_addc_co_u32_e32 v3, vcc, 0, v3, vcc
	s_waitcnt lgkmcnt(0)
	global_store_dwordx2 v[2:3], v[14:15], off offset:2048
.LBB93_72:
	s_or_b64 exec, exec, s[2:3]
	s_load_dword s0, s[0:1], 0x48
	s_waitcnt lgkmcnt(0)
	s_bfe_u32 s0, s0, 0x10008
	s_cmp_eq_u32 s0, 0
	s_cbranch_scc1 .LBB93_92
; %bb.73:
	s_add_u32 s0, s20, -1
	s_addc_u32 s1, s21, -1
	s_mul_i32 s5, s1, 0xaaaaaaab
	s_mul_hi_u32 s6, s0, 0xaaaaaaab
	s_mul_hi_u32 s4, s1, 0xaaaaaaab
	s_add_u32 s5, s5, s6
	s_mul_i32 s3, s0, 0xaaaaaaaa
	s_addc_u32 s4, s4, 0
	s_mul_hi_u32 s2, s0, 0xaaaaaaaa
	s_add_u32 s3, s3, s5
	s_addc_u32 s2, s2, 0
	s_add_u32 s2, s4, s2
	s_addc_u32 s3, 0, 0
	s_mul_i32 s5, s1, 0xaaaaaaaa
	s_mul_hi_u32 s4, s1, 0xaaaaaaaa
	s_add_u32 s2, s5, s2
	s_addc_u32 s3, s4, s3
	v_mov_b32_e32 v1, v27
	s_lshr_b64 s[2:3], s[2:3], 2
	v_cmp_eq_u64_e32 vcc, s[2:3], v[0:1]
	s_and_saveexec_b64 s[2:3], vcc
	s_cbranch_execz .LBB93_92
; %bb.74:
	v_mul_hi_u32_u24_e32 v1, 6, v0
	v_mul_u32_u24_e32 v0, 6, v0
	v_mov_b32_e32 v2, s1
	v_sub_co_u32_e32 v0, vcc, s0, v0
	s_nop 1
	v_subb_co_u32_e32 v1, vcc, v2, v1, vcc
	v_cmp_lt_i64_e32 vcc, 2, v[0:1]
	s_and_saveexec_b64 s[0:1], vcc
	s_xor_b64 s[0:1], exec, s[0:1]
	s_cbranch_execz .LBB93_84
; %bb.75:
	v_cmp_lt_i64_e32 vcc, 3, v[0:1]
	s_and_saveexec_b64 s[2:3], vcc
	s_xor_b64 s[2:3], exec, s[2:3]
	s_cbranch_execz .LBB93_81
; %bb.76:
	;; [unrolled: 5-line block ×3, first 2 shown]
	v_mov_b32_e32 v0, 0
	global_store_dwordx2 v0, v[14:15], s[14:15]
                                        ; implicit-def: $vgpr12_vgpr13_vgpr14_vgpr15
.LBB93_78:
	s_andn2_saveexec_b64 s[4:5], s[4:5]
	s_cbranch_execz .LBB93_80
; %bb.79:
	v_mov_b32_e32 v0, 0
	global_store_dwordx2 v0, v[12:13], s[14:15]
.LBB93_80:
	s_or_b64 exec, exec, s[4:5]
                                        ; implicit-def: $vgpr8_vgpr9_vgpr10_vgpr11
.LBB93_81:
	s_andn2_saveexec_b64 s[2:3], s[2:3]
	s_cbranch_execz .LBB93_83
; %bb.82:
	v_mov_b32_e32 v0, 0
	global_store_dwordx2 v0, v[10:11], s[14:15]
.LBB93_83:
	s_or_b64 exec, exec, s[2:3]
                                        ; implicit-def: $vgpr0_vgpr1
                                        ; implicit-def: $vgpr8_vgpr9_vgpr10_vgpr11
                                        ; implicit-def: $vgpr4_vgpr5_vgpr6_vgpr7
.LBB93_84:
	s_andn2_saveexec_b64 s[0:1], s[0:1]
	s_cbranch_execz .LBB93_92
; %bb.85:
	v_cmp_lt_i64_e32 vcc, 1, v[0:1]
	s_and_saveexec_b64 s[0:1], vcc
	s_xor_b64 s[0:1], exec, s[0:1]
	s_cbranch_execz .LBB93_87
; %bb.86:
	v_mov_b32_e32 v0, 0
	global_store_dwordx2 v0, v[8:9], s[14:15]
                                        ; implicit-def: $vgpr4_vgpr5_vgpr6_vgpr7
                                        ; implicit-def: $vgpr0_vgpr1
.LBB93_87:
	s_andn2_saveexec_b64 s[0:1], s[0:1]
	s_cbranch_execz .LBB93_92
; %bb.88:
	v_cmp_ne_u64_e32 vcc, 1, v[0:1]
	s_and_saveexec_b64 s[0:1], vcc
	s_xor_b64 s[0:1], exec, s[0:1]
	s_cbranch_execz .LBB93_90
; %bb.89:
	v_mov_b32_e32 v0, 0
	global_store_dwordx2 v0, v[4:5], s[14:15]
                                        ; implicit-def: $vgpr4_vgpr5_vgpr6_vgpr7
.LBB93_90:
	s_andn2_saveexec_b64 s[0:1], s[0:1]
	s_cbranch_execz .LBB93_92
; %bb.91:
	v_mov_b32_e32 v0, 0
	global_store_dwordx2 v0, v[6:7], s[14:15]
.LBB93_92:
	s_endpgm
	.section	.rodata,"a",@progbits
	.p2align	6, 0x0
	.amdhsa_kernel _ZN7rocprim17ROCPRIM_304000_NS6detail20lookback_scan_kernelILNS1_25lookback_scan_determinismE0ELb0ENS1_19wrapped_scan_configINS0_14default_configEN3c107complexIfEEEEPKS8_PS8_St4plusIS8_ES8_S8_NS1_19lookback_scan_stateIS8_Lb0ELb1EEEEEvT2_T3_mT5_T4_T7_jPT6_SN_bb
		.amdhsa_group_segment_fixed_size 12288
		.amdhsa_private_segment_fixed_size 0
		.amdhsa_kernarg_size 76
		.amdhsa_user_sgpr_count 2
		.amdhsa_user_sgpr_dispatch_ptr 0
		.amdhsa_user_sgpr_queue_ptr 0
		.amdhsa_user_sgpr_kernarg_segment_ptr 1
		.amdhsa_user_sgpr_dispatch_id 0
		.amdhsa_user_sgpr_kernarg_preload_length 0
		.amdhsa_user_sgpr_kernarg_preload_offset 0
		.amdhsa_user_sgpr_private_segment_size 0
		.amdhsa_uses_dynamic_stack 0
		.amdhsa_enable_private_segment 0
		.amdhsa_system_sgpr_workgroup_id_x 1
		.amdhsa_system_sgpr_workgroup_id_y 0
		.amdhsa_system_sgpr_workgroup_id_z 0
		.amdhsa_system_sgpr_workgroup_info 0
		.amdhsa_system_vgpr_workitem_id 0
		.amdhsa_next_free_vgpr 52
		.amdhsa_next_free_sgpr 24
		.amdhsa_accum_offset 52
		.amdhsa_reserve_vcc 1
		.amdhsa_float_round_mode_32 0
		.amdhsa_float_round_mode_16_64 0
		.amdhsa_float_denorm_mode_32 3
		.amdhsa_float_denorm_mode_16_64 3
		.amdhsa_dx10_clamp 1
		.amdhsa_ieee_mode 1
		.amdhsa_fp16_overflow 0
		.amdhsa_tg_split 0
		.amdhsa_exception_fp_ieee_invalid_op 0
		.amdhsa_exception_fp_denorm_src 0
		.amdhsa_exception_fp_ieee_div_zero 0
		.amdhsa_exception_fp_ieee_overflow 0
		.amdhsa_exception_fp_ieee_underflow 0
		.amdhsa_exception_fp_ieee_inexact 0
		.amdhsa_exception_int_div_zero 0
	.end_amdhsa_kernel
	.section	.text._ZN7rocprim17ROCPRIM_304000_NS6detail20lookback_scan_kernelILNS1_25lookback_scan_determinismE0ELb0ENS1_19wrapped_scan_configINS0_14default_configEN3c107complexIfEEEEPKS8_PS8_St4plusIS8_ES8_S8_NS1_19lookback_scan_stateIS8_Lb0ELb1EEEEEvT2_T3_mT5_T4_T7_jPT6_SN_bb,"axG",@progbits,_ZN7rocprim17ROCPRIM_304000_NS6detail20lookback_scan_kernelILNS1_25lookback_scan_determinismE0ELb0ENS1_19wrapped_scan_configINS0_14default_configEN3c107complexIfEEEEPKS8_PS8_St4plusIS8_ES8_S8_NS1_19lookback_scan_stateIS8_Lb0ELb1EEEEEvT2_T3_mT5_T4_T7_jPT6_SN_bb,comdat
.Lfunc_end93:
	.size	_ZN7rocprim17ROCPRIM_304000_NS6detail20lookback_scan_kernelILNS1_25lookback_scan_determinismE0ELb0ENS1_19wrapped_scan_configINS0_14default_configEN3c107complexIfEEEEPKS8_PS8_St4plusIS8_ES8_S8_NS1_19lookback_scan_stateIS8_Lb0ELb1EEEEEvT2_T3_mT5_T4_T7_jPT6_SN_bb, .Lfunc_end93-_ZN7rocprim17ROCPRIM_304000_NS6detail20lookback_scan_kernelILNS1_25lookback_scan_determinismE0ELb0ENS1_19wrapped_scan_configINS0_14default_configEN3c107complexIfEEEEPKS8_PS8_St4plusIS8_ES8_S8_NS1_19lookback_scan_stateIS8_Lb0ELb1EEEEEvT2_T3_mT5_T4_T7_jPT6_SN_bb
                                        ; -- End function
	.set _ZN7rocprim17ROCPRIM_304000_NS6detail20lookback_scan_kernelILNS1_25lookback_scan_determinismE0ELb0ENS1_19wrapped_scan_configINS0_14default_configEN3c107complexIfEEEEPKS8_PS8_St4plusIS8_ES8_S8_NS1_19lookback_scan_stateIS8_Lb0ELb1EEEEEvT2_T3_mT5_T4_T7_jPT6_SN_bb.num_vgpr, 52
	.set _ZN7rocprim17ROCPRIM_304000_NS6detail20lookback_scan_kernelILNS1_25lookback_scan_determinismE0ELb0ENS1_19wrapped_scan_configINS0_14default_configEN3c107complexIfEEEEPKS8_PS8_St4plusIS8_ES8_S8_NS1_19lookback_scan_stateIS8_Lb0ELb1EEEEEvT2_T3_mT5_T4_T7_jPT6_SN_bb.num_agpr, 0
	.set _ZN7rocprim17ROCPRIM_304000_NS6detail20lookback_scan_kernelILNS1_25lookback_scan_determinismE0ELb0ENS1_19wrapped_scan_configINS0_14default_configEN3c107complexIfEEEEPKS8_PS8_St4plusIS8_ES8_S8_NS1_19lookback_scan_stateIS8_Lb0ELb1EEEEEvT2_T3_mT5_T4_T7_jPT6_SN_bb.numbered_sgpr, 24
	.set _ZN7rocprim17ROCPRIM_304000_NS6detail20lookback_scan_kernelILNS1_25lookback_scan_determinismE0ELb0ENS1_19wrapped_scan_configINS0_14default_configEN3c107complexIfEEEEPKS8_PS8_St4plusIS8_ES8_S8_NS1_19lookback_scan_stateIS8_Lb0ELb1EEEEEvT2_T3_mT5_T4_T7_jPT6_SN_bb.num_named_barrier, 0
	.set _ZN7rocprim17ROCPRIM_304000_NS6detail20lookback_scan_kernelILNS1_25lookback_scan_determinismE0ELb0ENS1_19wrapped_scan_configINS0_14default_configEN3c107complexIfEEEEPKS8_PS8_St4plusIS8_ES8_S8_NS1_19lookback_scan_stateIS8_Lb0ELb1EEEEEvT2_T3_mT5_T4_T7_jPT6_SN_bb.private_seg_size, 0
	.set _ZN7rocprim17ROCPRIM_304000_NS6detail20lookback_scan_kernelILNS1_25lookback_scan_determinismE0ELb0ENS1_19wrapped_scan_configINS0_14default_configEN3c107complexIfEEEEPKS8_PS8_St4plusIS8_ES8_S8_NS1_19lookback_scan_stateIS8_Lb0ELb1EEEEEvT2_T3_mT5_T4_T7_jPT6_SN_bb.uses_vcc, 1
	.set _ZN7rocprim17ROCPRIM_304000_NS6detail20lookback_scan_kernelILNS1_25lookback_scan_determinismE0ELb0ENS1_19wrapped_scan_configINS0_14default_configEN3c107complexIfEEEEPKS8_PS8_St4plusIS8_ES8_S8_NS1_19lookback_scan_stateIS8_Lb0ELb1EEEEEvT2_T3_mT5_T4_T7_jPT6_SN_bb.uses_flat_scratch, 0
	.set _ZN7rocprim17ROCPRIM_304000_NS6detail20lookback_scan_kernelILNS1_25lookback_scan_determinismE0ELb0ENS1_19wrapped_scan_configINS0_14default_configEN3c107complexIfEEEEPKS8_PS8_St4plusIS8_ES8_S8_NS1_19lookback_scan_stateIS8_Lb0ELb1EEEEEvT2_T3_mT5_T4_T7_jPT6_SN_bb.has_dyn_sized_stack, 0
	.set _ZN7rocprim17ROCPRIM_304000_NS6detail20lookback_scan_kernelILNS1_25lookback_scan_determinismE0ELb0ENS1_19wrapped_scan_configINS0_14default_configEN3c107complexIfEEEEPKS8_PS8_St4plusIS8_ES8_S8_NS1_19lookback_scan_stateIS8_Lb0ELb1EEEEEvT2_T3_mT5_T4_T7_jPT6_SN_bb.has_recursion, 0
	.set _ZN7rocprim17ROCPRIM_304000_NS6detail20lookback_scan_kernelILNS1_25lookback_scan_determinismE0ELb0ENS1_19wrapped_scan_configINS0_14default_configEN3c107complexIfEEEEPKS8_PS8_St4plusIS8_ES8_S8_NS1_19lookback_scan_stateIS8_Lb0ELb1EEEEEvT2_T3_mT5_T4_T7_jPT6_SN_bb.has_indirect_call, 0
	.section	.AMDGPU.csdata,"",@progbits
; Kernel info:
; codeLenInByte = 4596
; TotalNumSgprs: 30
; NumVgprs: 52
; NumAgprs: 0
; TotalNumVgprs: 52
; ScratchSize: 0
; MemoryBound: 0
; FloatMode: 240
; IeeeMode: 1
; LDSByteSize: 12288 bytes/workgroup (compile time only)
; SGPRBlocks: 3
; VGPRBlocks: 6
; NumSGPRsForWavesPerEU: 30
; NumVGPRsForWavesPerEU: 52
; AccumOffset: 52
; Occupancy: 8
; WaveLimiterHint : 1
; COMPUTE_PGM_RSRC2:SCRATCH_EN: 0
; COMPUTE_PGM_RSRC2:USER_SGPR: 2
; COMPUTE_PGM_RSRC2:TRAP_HANDLER: 0
; COMPUTE_PGM_RSRC2:TGID_X_EN: 1
; COMPUTE_PGM_RSRC2:TGID_Y_EN: 0
; COMPUTE_PGM_RSRC2:TGID_Z_EN: 0
; COMPUTE_PGM_RSRC2:TIDIG_COMP_CNT: 0
; COMPUTE_PGM_RSRC3_GFX90A:ACCUM_OFFSET: 12
; COMPUTE_PGM_RSRC3_GFX90A:TG_SPLIT: 0
	.section	.text._ZN7rocprim17ROCPRIM_304000_NS6detail16transform_kernelINS1_24wrapped_transform_configINS0_14default_configEN3c107complexIfEEEES7_PS7_S9_NS0_8identityIS7_EEEEvT1_mT2_T3_,"axG",@progbits,_ZN7rocprim17ROCPRIM_304000_NS6detail16transform_kernelINS1_24wrapped_transform_configINS0_14default_configEN3c107complexIfEEEES7_PS7_S9_NS0_8identityIS7_EEEEvT1_mT2_T3_,comdat
	.protected	_ZN7rocprim17ROCPRIM_304000_NS6detail16transform_kernelINS1_24wrapped_transform_configINS0_14default_configEN3c107complexIfEEEES7_PS7_S9_NS0_8identityIS7_EEEEvT1_mT2_T3_ ; -- Begin function _ZN7rocprim17ROCPRIM_304000_NS6detail16transform_kernelINS1_24wrapped_transform_configINS0_14default_configEN3c107complexIfEEEES7_PS7_S9_NS0_8identityIS7_EEEEvT1_mT2_T3_
	.globl	_ZN7rocprim17ROCPRIM_304000_NS6detail16transform_kernelINS1_24wrapped_transform_configINS0_14default_configEN3c107complexIfEEEES7_PS7_S9_NS0_8identityIS7_EEEEvT1_mT2_T3_
	.p2align	8
	.type	_ZN7rocprim17ROCPRIM_304000_NS6detail16transform_kernelINS1_24wrapped_transform_configINS0_14default_configEN3c107complexIfEEEES7_PS7_S9_NS0_8identityIS7_EEEEvT1_mT2_T3_,@function
_ZN7rocprim17ROCPRIM_304000_NS6detail16transform_kernelINS1_24wrapped_transform_configINS0_14default_configEN3c107complexIfEEEES7_PS7_S9_NS0_8identityIS7_EEEEvT1_mT2_T3_: ; @_ZN7rocprim17ROCPRIM_304000_NS6detail16transform_kernelINS1_24wrapped_transform_configINS0_14default_configEN3c107complexIfEEEES7_PS7_S9_NS0_8identityIS7_EEEEvT1_mT2_T3_
; %bb.0:
	s_load_dword s3, s[0:1], 0x20
	s_load_dwordx4 s[4:7], s[0:1], 0x0
	s_lshl_b32 s8, s2, 7
	s_waitcnt lgkmcnt(0)
	s_add_i32 s3, s3, -1
	s_cmp_lg_u32 s2, s3
	s_cselect_b64 s[2:3], -1, 0
	s_sub_i32 s6, s6, s8
	v_cmp_gt_u32_e32 vcc, s6, v0
	s_or_b64 s[2:3], vcc, s[2:3]
	s_and_saveexec_b64 s[6:7], s[2:3]
	s_cbranch_execz .LBB94_2
; %bb.1:
	s_load_dwordx2 s[0:1], s[0:1], 0x10
	s_mov_b32 s9, 0
	s_lshl_b64 s[2:3], s[8:9], 3
	v_lshlrev_b32_e32 v2, 3, v0
	s_waitcnt lgkmcnt(0)
	s_add_u32 s0, s0, s2
	s_addc_u32 s1, s1, s3
	s_add_u32 s2, s4, s2
	s_addc_u32 s3, s5, s3
	global_load_dwordx2 v[0:1], v2, s[2:3]
	s_waitcnt vmcnt(0)
	global_store_dwordx2 v2, v[0:1], s[0:1]
.LBB94_2:
	s_endpgm
	.section	.rodata,"a",@progbits
	.p2align	6, 0x0
	.amdhsa_kernel _ZN7rocprim17ROCPRIM_304000_NS6detail16transform_kernelINS1_24wrapped_transform_configINS0_14default_configEN3c107complexIfEEEES7_PS7_S9_NS0_8identityIS7_EEEEvT1_mT2_T3_
		.amdhsa_group_segment_fixed_size 0
		.amdhsa_private_segment_fixed_size 0
		.amdhsa_kernarg_size 288
		.amdhsa_user_sgpr_count 2
		.amdhsa_user_sgpr_dispatch_ptr 0
		.amdhsa_user_sgpr_queue_ptr 0
		.amdhsa_user_sgpr_kernarg_segment_ptr 1
		.amdhsa_user_sgpr_dispatch_id 0
		.amdhsa_user_sgpr_kernarg_preload_length 0
		.amdhsa_user_sgpr_kernarg_preload_offset 0
		.amdhsa_user_sgpr_private_segment_size 0
		.amdhsa_uses_dynamic_stack 0
		.amdhsa_enable_private_segment 0
		.amdhsa_system_sgpr_workgroup_id_x 1
		.amdhsa_system_sgpr_workgroup_id_y 0
		.amdhsa_system_sgpr_workgroup_id_z 0
		.amdhsa_system_sgpr_workgroup_info 0
		.amdhsa_system_vgpr_workitem_id 0
		.amdhsa_next_free_vgpr 3
		.amdhsa_next_free_sgpr 10
		.amdhsa_accum_offset 4
		.amdhsa_reserve_vcc 1
		.amdhsa_float_round_mode_32 0
		.amdhsa_float_round_mode_16_64 0
		.amdhsa_float_denorm_mode_32 3
		.amdhsa_float_denorm_mode_16_64 3
		.amdhsa_dx10_clamp 1
		.amdhsa_ieee_mode 1
		.amdhsa_fp16_overflow 0
		.amdhsa_tg_split 0
		.amdhsa_exception_fp_ieee_invalid_op 0
		.amdhsa_exception_fp_denorm_src 0
		.amdhsa_exception_fp_ieee_div_zero 0
		.amdhsa_exception_fp_ieee_overflow 0
		.amdhsa_exception_fp_ieee_underflow 0
		.amdhsa_exception_fp_ieee_inexact 0
		.amdhsa_exception_int_div_zero 0
	.end_amdhsa_kernel
	.section	.text._ZN7rocprim17ROCPRIM_304000_NS6detail16transform_kernelINS1_24wrapped_transform_configINS0_14default_configEN3c107complexIfEEEES7_PS7_S9_NS0_8identityIS7_EEEEvT1_mT2_T3_,"axG",@progbits,_ZN7rocprim17ROCPRIM_304000_NS6detail16transform_kernelINS1_24wrapped_transform_configINS0_14default_configEN3c107complexIfEEEES7_PS7_S9_NS0_8identityIS7_EEEEvT1_mT2_T3_,comdat
.Lfunc_end94:
	.size	_ZN7rocprim17ROCPRIM_304000_NS6detail16transform_kernelINS1_24wrapped_transform_configINS0_14default_configEN3c107complexIfEEEES7_PS7_S9_NS0_8identityIS7_EEEEvT1_mT2_T3_, .Lfunc_end94-_ZN7rocprim17ROCPRIM_304000_NS6detail16transform_kernelINS1_24wrapped_transform_configINS0_14default_configEN3c107complexIfEEEES7_PS7_S9_NS0_8identityIS7_EEEEvT1_mT2_T3_
                                        ; -- End function
	.set _ZN7rocprim17ROCPRIM_304000_NS6detail16transform_kernelINS1_24wrapped_transform_configINS0_14default_configEN3c107complexIfEEEES7_PS7_S9_NS0_8identityIS7_EEEEvT1_mT2_T3_.num_vgpr, 3
	.set _ZN7rocprim17ROCPRIM_304000_NS6detail16transform_kernelINS1_24wrapped_transform_configINS0_14default_configEN3c107complexIfEEEES7_PS7_S9_NS0_8identityIS7_EEEEvT1_mT2_T3_.num_agpr, 0
	.set _ZN7rocprim17ROCPRIM_304000_NS6detail16transform_kernelINS1_24wrapped_transform_configINS0_14default_configEN3c107complexIfEEEES7_PS7_S9_NS0_8identityIS7_EEEEvT1_mT2_T3_.numbered_sgpr, 10
	.set _ZN7rocprim17ROCPRIM_304000_NS6detail16transform_kernelINS1_24wrapped_transform_configINS0_14default_configEN3c107complexIfEEEES7_PS7_S9_NS0_8identityIS7_EEEEvT1_mT2_T3_.num_named_barrier, 0
	.set _ZN7rocprim17ROCPRIM_304000_NS6detail16transform_kernelINS1_24wrapped_transform_configINS0_14default_configEN3c107complexIfEEEES7_PS7_S9_NS0_8identityIS7_EEEEvT1_mT2_T3_.private_seg_size, 0
	.set _ZN7rocprim17ROCPRIM_304000_NS6detail16transform_kernelINS1_24wrapped_transform_configINS0_14default_configEN3c107complexIfEEEES7_PS7_S9_NS0_8identityIS7_EEEEvT1_mT2_T3_.uses_vcc, 1
	.set _ZN7rocprim17ROCPRIM_304000_NS6detail16transform_kernelINS1_24wrapped_transform_configINS0_14default_configEN3c107complexIfEEEES7_PS7_S9_NS0_8identityIS7_EEEEvT1_mT2_T3_.uses_flat_scratch, 0
	.set _ZN7rocprim17ROCPRIM_304000_NS6detail16transform_kernelINS1_24wrapped_transform_configINS0_14default_configEN3c107complexIfEEEES7_PS7_S9_NS0_8identityIS7_EEEEvT1_mT2_T3_.has_dyn_sized_stack, 0
	.set _ZN7rocprim17ROCPRIM_304000_NS6detail16transform_kernelINS1_24wrapped_transform_configINS0_14default_configEN3c107complexIfEEEES7_PS7_S9_NS0_8identityIS7_EEEEvT1_mT2_T3_.has_recursion, 0
	.set _ZN7rocprim17ROCPRIM_304000_NS6detail16transform_kernelINS1_24wrapped_transform_configINS0_14default_configEN3c107complexIfEEEES7_PS7_S9_NS0_8identityIS7_EEEEvT1_mT2_T3_.has_indirect_call, 0
	.section	.AMDGPU.csdata,"",@progbits
; Kernel info:
; codeLenInByte = 120
; TotalNumSgprs: 16
; NumVgprs: 3
; NumAgprs: 0
; TotalNumVgprs: 3
; ScratchSize: 0
; MemoryBound: 0
; FloatMode: 240
; IeeeMode: 1
; LDSByteSize: 0 bytes/workgroup (compile time only)
; SGPRBlocks: 1
; VGPRBlocks: 0
; NumSGPRsForWavesPerEU: 16
; NumVGPRsForWavesPerEU: 3
; AccumOffset: 4
; Occupancy: 8
; WaveLimiterHint : 0
; COMPUTE_PGM_RSRC2:SCRATCH_EN: 0
; COMPUTE_PGM_RSRC2:USER_SGPR: 2
; COMPUTE_PGM_RSRC2:TRAP_HANDLER: 0
; COMPUTE_PGM_RSRC2:TGID_X_EN: 1
; COMPUTE_PGM_RSRC2:TGID_Y_EN: 0
; COMPUTE_PGM_RSRC2:TGID_Z_EN: 0
; COMPUTE_PGM_RSRC2:TIDIG_COMP_CNT: 0
; COMPUTE_PGM_RSRC3_GFX90A:ACCUM_OFFSET: 0
; COMPUTE_PGM_RSRC3_GFX90A:TG_SPLIT: 0
	.section	.text._ZN7rocprim17ROCPRIM_304000_NS6detail18single_scan_kernelILb0ENS1_19wrapped_scan_configINS0_14default_configEN3c107complexIfEEEEPKS7_PS7_St4plusIS7_ES7_S7_EEvT1_mT4_T2_T3_,"axG",@progbits,_ZN7rocprim17ROCPRIM_304000_NS6detail18single_scan_kernelILb0ENS1_19wrapped_scan_configINS0_14default_configEN3c107complexIfEEEEPKS7_PS7_St4plusIS7_ES7_S7_EEvT1_mT4_T2_T3_,comdat
	.protected	_ZN7rocprim17ROCPRIM_304000_NS6detail18single_scan_kernelILb0ENS1_19wrapped_scan_configINS0_14default_configEN3c107complexIfEEEEPKS7_PS7_St4plusIS7_ES7_S7_EEvT1_mT4_T2_T3_ ; -- Begin function _ZN7rocprim17ROCPRIM_304000_NS6detail18single_scan_kernelILb0ENS1_19wrapped_scan_configINS0_14default_configEN3c107complexIfEEEEPKS7_PS7_St4plusIS7_ES7_S7_EEvT1_mT4_T2_T3_
	.globl	_ZN7rocprim17ROCPRIM_304000_NS6detail18single_scan_kernelILb0ENS1_19wrapped_scan_configINS0_14default_configEN3c107complexIfEEEEPKS7_PS7_St4plusIS7_ES7_S7_EEvT1_mT4_T2_T3_
	.p2align	8
	.type	_ZN7rocprim17ROCPRIM_304000_NS6detail18single_scan_kernelILb0ENS1_19wrapped_scan_configINS0_14default_configEN3c107complexIfEEEEPKS7_PS7_St4plusIS7_ES7_S7_EEvT1_mT4_T2_T3_,@function
_ZN7rocprim17ROCPRIM_304000_NS6detail18single_scan_kernelILb0ENS1_19wrapped_scan_configINS0_14default_configEN3c107complexIfEEEEPKS7_PS7_St4plusIS7_ES7_S7_EEvT1_mT4_T2_T3_: ; @_ZN7rocprim17ROCPRIM_304000_NS6detail18single_scan_kernelILb0ENS1_19wrapped_scan_configINS0_14default_configEN3c107complexIfEEEEPKS7_PS7_St4plusIS7_ES7_S7_EEvT1_mT4_T2_T3_
; %bb.0:
	s_load_dwordx4 s[12:15], s[0:1], 0x0
	v_mov_b32_e32 v23, 0
	v_lshlrev_b32_e32 v22, 3, v0
	s_waitcnt lgkmcnt(0)
	s_load_dwordx2 s[16:17], s[12:13], 0x0
	v_lshl_add_u64 v[4:5], s[12:13], 0, v[22:23]
	v_cmp_gt_u32_e64 s[8:9], s14, v0
	s_waitcnt lgkmcnt(0)
	v_mov_b64_e32 v[2:3], s[16:17]
	s_and_saveexec_b64 s[2:3], s[8:9]
	s_cbranch_execz .LBB95_2
; %bb.1:
	global_load_dwordx2 v[2:3], v[4:5], off
.LBB95_2:
	s_or_b64 exec, exec, s[2:3]
	v_or_b32_e32 v1, 0x100, v0
	v_cmp_gt_u32_e64 s[2:3], s14, v1
	v_mov_b64_e32 v[6:7], s[16:17]
	s_and_saveexec_b64 s[4:5], s[2:3]
	s_cbranch_execz .LBB95_4
; %bb.3:
	global_load_dwordx2 v[6:7], v[4:5], off offset:2048
.LBB95_4:
	s_or_b64 exec, exec, s[4:5]
	v_or_b32_e32 v1, 0x200, v0
	v_cmp_gt_u32_e64 s[4:5], s14, v1
	v_mov_b64_e32 v[8:9], s[16:17]
	s_and_saveexec_b64 s[6:7], s[4:5]
	s_cbranch_execz .LBB95_6
; %bb.5:
	v_add_co_u32_e32 v8, vcc, 0x1000, v4
	s_nop 1
	v_addc_co_u32_e32 v9, vcc, 0, v5, vcc
	global_load_dwordx2 v[8:9], v[8:9], off
.LBB95_6:
	s_or_b64 exec, exec, s[6:7]
	v_or_b32_e32 v1, 0x300, v0
	v_cmp_gt_u32_e64 s[6:7], s14, v1
	v_mov_b64_e32 v[10:11], s[16:17]
	s_and_saveexec_b64 s[10:11], s[6:7]
	s_cbranch_execz .LBB95_8
; %bb.7:
	v_add_co_u32_e32 v10, vcc, 0x1000, v4
	s_nop 1
	v_addc_co_u32_e32 v11, vcc, 0, v5, vcc
	global_load_dwordx2 v[10:11], v[10:11], off offset:2048
.LBB95_8:
	s_or_b64 exec, exec, s[10:11]
	v_or_b32_e32 v1, 0x400, v0
	v_cmp_gt_u32_e64 s[10:11], s14, v1
	v_mov_b64_e32 v[12:13], s[16:17]
	s_and_saveexec_b64 s[12:13], s[10:11]
	s_cbranch_execz .LBB95_10
; %bb.9:
	v_add_co_u32_e32 v12, vcc, 0x2000, v4
	s_nop 1
	v_addc_co_u32_e32 v13, vcc, 0, v5, vcc
	global_load_dwordx2 v[12:13], v[12:13], off
.LBB95_10:
	s_or_b64 exec, exec, s[12:13]
	v_or_b32_e32 v1, 0x500, v0
	v_cmp_gt_u32_e64 s[12:13], s14, v1
	v_mov_b64_e32 v[14:15], s[16:17]
	s_and_saveexec_b64 s[14:15], s[12:13]
	s_cbranch_execz .LBB95_12
; %bb.11:
	v_add_co_u32_e32 v4, vcc, 0x2000, v4
	s_nop 1
	v_addc_co_u32_e32 v5, vcc, 0, v5, vcc
	global_load_dwordx2 v[14:15], v[4:5], off offset:2048
.LBB95_12:
	s_or_b64 exec, exec, s[14:15]
	v_mad_u32_u24 v1, v0, 40, v22
	s_waitcnt vmcnt(0)
	ds_write2st64_b64 v22, v[2:3], v[6:7] offset1:4
	ds_write2st64_b64 v22, v[8:9], v[10:11] offset0:8 offset1:12
	ds_write2st64_b64 v22, v[12:13], v[14:15] offset0:16 offset1:20
	s_waitcnt lgkmcnt(0)
	s_barrier
	ds_read_b128 v[2:5], v1
	ds_read_b128 v[18:21], v1 offset:16
	ds_read_b128 v[14:17], v1 offset:32
	v_mbcnt_lo_u32_b32 v1, -1, 0
	v_mbcnt_hi_u32_b32 v1, -1, v1
	s_waitcnt lgkmcnt(2)
	v_pk_add_f32 v[24:25], v[4:5], v[2:3]
	v_and_b32_e32 v23, 15, v1
	s_waitcnt lgkmcnt(1)
	v_pk_add_f32 v[6:7], v[24:25], v[18:19]
	v_cmp_eq_u32_e32 vcc, 0, v23
	v_pk_add_f32 v[8:9], v[6:7], v[20:21]
	v_or_b32_e32 v30, 63, v0
	s_waitcnt lgkmcnt(0)
	v_pk_add_f32 v[10:11], v[8:9], v[14:15]
	v_cmp_lt_u32_e64 s[14:15], 31, v1
	v_pk_add_f32 v[12:13], v[10:11], v[16:17]
	s_barrier
	s_nop 0
	v_mov_b32_dpp v26, v12 row_shr:1 row_mask:0xf bank_mask:0xf
	v_mov_b32_dpp v27, v13 row_shr:1 row_mask:0xf bank_mask:0xf
	v_pk_add_f32 v[26:27], v[12:13], v[26:27]
	s_nop 0
	v_cndmask_b32_e32 v27, v27, v13, vcc
	v_cndmask_b32_e32 v26, v26, v12, vcc
	v_cmp_lt_u32_e32 vcc, 1, v23
	v_mov_b32_dpp v29, v27 row_shr:2 row_mask:0xf bank_mask:0xf
	v_mov_b32_dpp v28, v26 row_shr:2 row_mask:0xf bank_mask:0xf
	v_pk_add_f32 v[28:29], v[26:27], v[28:29]
	s_nop 0
	v_cndmask_b32_e32 v27, v27, v29, vcc
	v_cndmask_b32_e32 v26, v26, v28, vcc
	v_cmp_lt_u32_e32 vcc, 3, v23
	;; [unrolled: 7-line block ×3, first 2 shown]
	v_mov_b32_dpp v29, v27 row_shr:8 row_mask:0xf bank_mask:0xf
	v_mov_b32_dpp v28, v26 row_shr:8 row_mask:0xf bank_mask:0xf
	v_pk_add_f32 v[28:29], v[26:27], v[28:29]
	v_and_b32_e32 v23, 16, v1
	v_cndmask_b32_e32 v27, v27, v29, vcc
	v_cndmask_b32_e32 v26, v26, v28, vcc
	v_cmp_eq_u32_e32 vcc, 0, v23
	v_mov_b32_dpp v29, v27 row_bcast:15 row_mask:0xf bank_mask:0xf
	v_mov_b32_dpp v28, v26 row_bcast:15 row_mask:0xf bank_mask:0xf
	v_pk_add_f32 v[28:29], v[26:27], v[28:29]
	v_lshrrev_b32_e32 v23, 6, v0
	v_cndmask_b32_e32 v27, v29, v27, vcc
	v_cndmask_b32_e32 v26, v28, v26, vcc
	v_cmp_eq_u32_e32 vcc, v0, v30
	v_mov_b32_dpp v29, v27 row_bcast:31 row_mask:0xf bank_mask:0xf
	v_mov_b32_dpp v28, v26 row_bcast:31 row_mask:0xf bank_mask:0xf
	v_pk_add_f32 v[28:29], v[26:27], v[28:29]
	s_nop 0
	v_cndmask_b32_e64 v27, v27, v29, s[14:15]
	v_cndmask_b32_e64 v26, v26, v28, s[14:15]
	s_and_saveexec_b64 s[14:15], vcc
; %bb.13:
	v_lshlrev_b32_e32 v28, 3, v23
	ds_write_b64 v28, v[26:27]
; %bb.14:
	s_or_b64 exec, exec, s[14:15]
	v_cmp_gt_u32_e32 vcc, 4, v0
	s_waitcnt lgkmcnt(0)
	s_barrier
	s_and_saveexec_b64 s[14:15], vcc
	s_cbranch_execz .LBB95_16
; %bb.15:
	ds_read_b64 v[28:29], v22
	v_and_b32_e32 v32, 3, v1
	v_cmp_eq_u32_e32 vcc, 0, v32
	s_waitcnt lgkmcnt(0)
	v_mov_b32_dpp v30, v28 row_shr:1 row_mask:0xf bank_mask:0xf
	v_mov_b32_dpp v31, v29 row_shr:1 row_mask:0xf bank_mask:0xf
	v_pk_add_f32 v[30:31], v[28:29], v[30:31]
	s_nop 0
	v_cndmask_b32_e32 v29, v31, v29, vcc
	v_cndmask_b32_e32 v28, v30, v28, vcc
	v_cmp_lt_u32_e32 vcc, 1, v32
	v_mov_b32_dpp v31, v29 row_shr:2 row_mask:0xf bank_mask:0xf
	v_mov_b32_dpp v30, v28 row_shr:2 row_mask:0xf bank_mask:0xf
	v_pk_add_f32 v[30:31], v[28:29], v[30:31]
	s_nop 0
	v_cndmask_b32_e32 v29, v29, v31, vcc
	v_cndmask_b32_e32 v28, v28, v30, vcc
	ds_write_b64 v22, v[28:29]
.LBB95_16:
	s_or_b64 exec, exec, s[14:15]
	v_cmp_lt_u32_e32 vcc, 63, v0
	v_mov_b32_e32 v28, 0
	v_mov_b32_e32 v29, 0
	s_waitcnt lgkmcnt(0)
	s_barrier
	s_and_saveexec_b64 s[14:15], vcc
	s_cbranch_execz .LBB95_18
; %bb.17:
	v_lshl_add_u32 v23, v23, 3, -8
	ds_read_b64 v[28:29], v23
	s_waitcnt lgkmcnt(0)
	v_pk_add_f32 v[26:27], v[26:27], v[28:29]
.LBB95_18:
	s_or_b64 exec, exec, s[14:15]
	v_add_u32_e32 v23, -1, v1
	v_and_b32_e32 v30, 0xffffffc0, v1
	v_cmp_lt_i32_e32 vcc, v23, v30
	s_nop 1
	v_cndmask_b32_e32 v23, v23, v1, vcc
	v_lshlrev_b32_e32 v23, 2, v23
	ds_bpermute_b32 v26, v23, v26
	ds_bpermute_b32 v27, v23, v27
	v_mul_u32_u24_e32 v23, 40, v0
	v_cmp_ne_u32_e32 vcc, 0, v0
	s_and_saveexec_b64 s[14:15], vcc
	s_cbranch_execz .LBB95_20
; %bb.19:
	v_cmp_eq_u32_e32 vcc, 0, v1
	s_waitcnt lgkmcnt(0)
	s_nop 0
	v_cndmask_b32_e32 v1, v27, v29, vcc
	v_cndmask_b32_e32 v0, v26, v28, vcc
	v_pk_add_f32 v[2:3], v[2:3], v[0:1]
	s_nop 0
	v_pk_add_f32 v[24:25], v[4:5], v[2:3]
	s_nop 0
	;; [unrolled: 2-line block ×5, first 2 shown]
	v_pk_add_f32 v[12:13], v[16:17], v[10:11]
.LBB95_20:
	s_or_b64 exec, exec, s[14:15]
	v_add_u32_e32 v0, v22, v23
	v_mov_b32_e32 v4, v24
	v_mov_b32_e32 v5, v25
	s_load_dwordx2 s[0:1], s[0:1], 0x18
	s_waitcnt lgkmcnt(0)
	s_barrier
	ds_write_b128 v0, v[2:5]
	ds_write_b128 v0, v[6:9] offset:16
	ds_write_b128 v0, v[10:13] offset:32
	s_waitcnt lgkmcnt(0)
	s_barrier
	ds_read2st64_b64 v[4:7], v22 offset0:4 offset1:8
	ds_read2st64_b64 v[0:3], v22 offset0:12 offset1:16
	ds_read_b64 v[8:9], v22 offset:10240
	v_mov_b32_e32 v23, 0
	v_lshl_add_u64 v[10:11], s[0:1], 0, v[22:23]
	s_and_saveexec_b64 s[0:1], s[8:9]
	s_cbranch_execnz .LBB95_27
; %bb.21:
	s_or_b64 exec, exec, s[0:1]
	s_and_saveexec_b64 s[0:1], s[2:3]
	s_cbranch_execnz .LBB95_28
.LBB95_22:
	s_or_b64 exec, exec, s[0:1]
	s_and_saveexec_b64 s[0:1], s[4:5]
	s_cbranch_execnz .LBB95_29
.LBB95_23:
	s_or_b64 exec, exec, s[0:1]
	s_and_saveexec_b64 s[0:1], s[6:7]
	s_cbranch_execnz .LBB95_30
.LBB95_24:
	s_or_b64 exec, exec, s[0:1]
	s_and_saveexec_b64 s[0:1], s[10:11]
	s_cbranch_execnz .LBB95_31
.LBB95_25:
	s_or_b64 exec, exec, s[0:1]
	s_and_saveexec_b64 s[0:1], s[12:13]
	s_cbranch_execnz .LBB95_32
.LBB95_26:
	s_endpgm
.LBB95_27:
	ds_read_b64 v[12:13], v22
	s_waitcnt lgkmcnt(0)
	global_store_dwordx2 v[10:11], v[12:13], off
	s_or_b64 exec, exec, s[0:1]
	s_and_saveexec_b64 s[0:1], s[2:3]
	s_cbranch_execz .LBB95_22
.LBB95_28:
	s_waitcnt lgkmcnt(2)
	global_store_dwordx2 v[10:11], v[4:5], off offset:2048
	s_or_b64 exec, exec, s[0:1]
	s_and_saveexec_b64 s[0:1], s[4:5]
	s_cbranch_execz .LBB95_23
.LBB95_29:
	s_waitcnt lgkmcnt(2)
	v_add_co_u32_e32 v4, vcc, 0x1000, v10
	s_nop 1
	v_addc_co_u32_e32 v5, vcc, 0, v11, vcc
	global_store_dwordx2 v[4:5], v[6:7], off
	s_or_b64 exec, exec, s[0:1]
	s_and_saveexec_b64 s[0:1], s[6:7]
	s_cbranch_execz .LBB95_24
.LBB95_30:
	s_waitcnt lgkmcnt(2)
	v_add_co_u32_e32 v4, vcc, 0x1000, v10
	s_nop 1
	v_addc_co_u32_e32 v5, vcc, 0, v11, vcc
	s_waitcnt lgkmcnt(1)
	global_store_dwordx2 v[4:5], v[0:1], off offset:2048
	s_or_b64 exec, exec, s[0:1]
	s_and_saveexec_b64 s[0:1], s[10:11]
	s_cbranch_execz .LBB95_25
.LBB95_31:
	s_waitcnt lgkmcnt(1)
	v_add_co_u32_e32 v0, vcc, 0x2000, v10
	s_nop 1
	v_addc_co_u32_e32 v1, vcc, 0, v11, vcc
	global_store_dwordx2 v[0:1], v[2:3], off
	s_or_b64 exec, exec, s[0:1]
	s_and_saveexec_b64 s[0:1], s[12:13]
	s_cbranch_execz .LBB95_26
.LBB95_32:
	s_waitcnt lgkmcnt(1)
	v_add_co_u32_e32 v0, vcc, 0x2000, v10
	s_nop 1
	v_addc_co_u32_e32 v1, vcc, 0, v11, vcc
	s_waitcnt lgkmcnt(0)
	global_store_dwordx2 v[0:1], v[8:9], off offset:2048
	s_endpgm
	.section	.rodata,"a",@progbits
	.p2align	6, 0x0
	.amdhsa_kernel _ZN7rocprim17ROCPRIM_304000_NS6detail18single_scan_kernelILb0ENS1_19wrapped_scan_configINS0_14default_configEN3c107complexIfEEEEPKS7_PS7_St4plusIS7_ES7_S7_EEvT1_mT4_T2_T3_
		.amdhsa_group_segment_fixed_size 12288
		.amdhsa_private_segment_fixed_size 0
		.amdhsa_kernarg_size 36
		.amdhsa_user_sgpr_count 2
		.amdhsa_user_sgpr_dispatch_ptr 0
		.amdhsa_user_sgpr_queue_ptr 0
		.amdhsa_user_sgpr_kernarg_segment_ptr 1
		.amdhsa_user_sgpr_dispatch_id 0
		.amdhsa_user_sgpr_kernarg_preload_length 0
		.amdhsa_user_sgpr_kernarg_preload_offset 0
		.amdhsa_user_sgpr_private_segment_size 0
		.amdhsa_uses_dynamic_stack 0
		.amdhsa_enable_private_segment 0
		.amdhsa_system_sgpr_workgroup_id_x 1
		.amdhsa_system_sgpr_workgroup_id_y 0
		.amdhsa_system_sgpr_workgroup_id_z 0
		.amdhsa_system_sgpr_workgroup_info 0
		.amdhsa_system_vgpr_workitem_id 0
		.amdhsa_next_free_vgpr 33
		.amdhsa_next_free_sgpr 18
		.amdhsa_accum_offset 36
		.amdhsa_reserve_vcc 1
		.amdhsa_float_round_mode_32 0
		.amdhsa_float_round_mode_16_64 0
		.amdhsa_float_denorm_mode_32 3
		.amdhsa_float_denorm_mode_16_64 3
		.amdhsa_dx10_clamp 1
		.amdhsa_ieee_mode 1
		.amdhsa_fp16_overflow 0
		.amdhsa_tg_split 0
		.amdhsa_exception_fp_ieee_invalid_op 0
		.amdhsa_exception_fp_denorm_src 0
		.amdhsa_exception_fp_ieee_div_zero 0
		.amdhsa_exception_fp_ieee_overflow 0
		.amdhsa_exception_fp_ieee_underflow 0
		.amdhsa_exception_fp_ieee_inexact 0
		.amdhsa_exception_int_div_zero 0
	.end_amdhsa_kernel
	.section	.text._ZN7rocprim17ROCPRIM_304000_NS6detail18single_scan_kernelILb0ENS1_19wrapped_scan_configINS0_14default_configEN3c107complexIfEEEEPKS7_PS7_St4plusIS7_ES7_S7_EEvT1_mT4_T2_T3_,"axG",@progbits,_ZN7rocprim17ROCPRIM_304000_NS6detail18single_scan_kernelILb0ENS1_19wrapped_scan_configINS0_14default_configEN3c107complexIfEEEEPKS7_PS7_St4plusIS7_ES7_S7_EEvT1_mT4_T2_T3_,comdat
.Lfunc_end95:
	.size	_ZN7rocprim17ROCPRIM_304000_NS6detail18single_scan_kernelILb0ENS1_19wrapped_scan_configINS0_14default_configEN3c107complexIfEEEEPKS7_PS7_St4plusIS7_ES7_S7_EEvT1_mT4_T2_T3_, .Lfunc_end95-_ZN7rocprim17ROCPRIM_304000_NS6detail18single_scan_kernelILb0ENS1_19wrapped_scan_configINS0_14default_configEN3c107complexIfEEEEPKS7_PS7_St4plusIS7_ES7_S7_EEvT1_mT4_T2_T3_
                                        ; -- End function
	.set _ZN7rocprim17ROCPRIM_304000_NS6detail18single_scan_kernelILb0ENS1_19wrapped_scan_configINS0_14default_configEN3c107complexIfEEEEPKS7_PS7_St4plusIS7_ES7_S7_EEvT1_mT4_T2_T3_.num_vgpr, 33
	.set _ZN7rocprim17ROCPRIM_304000_NS6detail18single_scan_kernelILb0ENS1_19wrapped_scan_configINS0_14default_configEN3c107complexIfEEEEPKS7_PS7_St4plusIS7_ES7_S7_EEvT1_mT4_T2_T3_.num_agpr, 0
	.set _ZN7rocprim17ROCPRIM_304000_NS6detail18single_scan_kernelILb0ENS1_19wrapped_scan_configINS0_14default_configEN3c107complexIfEEEEPKS7_PS7_St4plusIS7_ES7_S7_EEvT1_mT4_T2_T3_.numbered_sgpr, 18
	.set _ZN7rocprim17ROCPRIM_304000_NS6detail18single_scan_kernelILb0ENS1_19wrapped_scan_configINS0_14default_configEN3c107complexIfEEEEPKS7_PS7_St4plusIS7_ES7_S7_EEvT1_mT4_T2_T3_.num_named_barrier, 0
	.set _ZN7rocprim17ROCPRIM_304000_NS6detail18single_scan_kernelILb0ENS1_19wrapped_scan_configINS0_14default_configEN3c107complexIfEEEEPKS7_PS7_St4plusIS7_ES7_S7_EEvT1_mT4_T2_T3_.private_seg_size, 0
	.set _ZN7rocprim17ROCPRIM_304000_NS6detail18single_scan_kernelILb0ENS1_19wrapped_scan_configINS0_14default_configEN3c107complexIfEEEEPKS7_PS7_St4plusIS7_ES7_S7_EEvT1_mT4_T2_T3_.uses_vcc, 1
	.set _ZN7rocprim17ROCPRIM_304000_NS6detail18single_scan_kernelILb0ENS1_19wrapped_scan_configINS0_14default_configEN3c107complexIfEEEEPKS7_PS7_St4plusIS7_ES7_S7_EEvT1_mT4_T2_T3_.uses_flat_scratch, 0
	.set _ZN7rocprim17ROCPRIM_304000_NS6detail18single_scan_kernelILb0ENS1_19wrapped_scan_configINS0_14default_configEN3c107complexIfEEEEPKS7_PS7_St4plusIS7_ES7_S7_EEvT1_mT4_T2_T3_.has_dyn_sized_stack, 0
	.set _ZN7rocprim17ROCPRIM_304000_NS6detail18single_scan_kernelILb0ENS1_19wrapped_scan_configINS0_14default_configEN3c107complexIfEEEEPKS7_PS7_St4plusIS7_ES7_S7_EEvT1_mT4_T2_T3_.has_recursion, 0
	.set _ZN7rocprim17ROCPRIM_304000_NS6detail18single_scan_kernelILb0ENS1_19wrapped_scan_configINS0_14default_configEN3c107complexIfEEEEPKS7_PS7_St4plusIS7_ES7_S7_EEvT1_mT4_T2_T3_.has_indirect_call, 0
	.section	.AMDGPU.csdata,"",@progbits
; Kernel info:
; codeLenInByte = 1488
; TotalNumSgprs: 24
; NumVgprs: 33
; NumAgprs: 0
; TotalNumVgprs: 33
; ScratchSize: 0
; MemoryBound: 0
; FloatMode: 240
; IeeeMode: 1
; LDSByteSize: 12288 bytes/workgroup (compile time only)
; SGPRBlocks: 2
; VGPRBlocks: 4
; NumSGPRsForWavesPerEU: 24
; NumVGPRsForWavesPerEU: 33
; AccumOffset: 36
; Occupancy: 8
; WaveLimiterHint : 0
; COMPUTE_PGM_RSRC2:SCRATCH_EN: 0
; COMPUTE_PGM_RSRC2:USER_SGPR: 2
; COMPUTE_PGM_RSRC2:TRAP_HANDLER: 0
; COMPUTE_PGM_RSRC2:TGID_X_EN: 1
; COMPUTE_PGM_RSRC2:TGID_Y_EN: 0
; COMPUTE_PGM_RSRC2:TGID_Z_EN: 0
; COMPUTE_PGM_RSRC2:TIDIG_COMP_CNT: 0
; COMPUTE_PGM_RSRC3_GFX90A:ACCUM_OFFSET: 8
; COMPUTE_PGM_RSRC3_GFX90A:TG_SPLIT: 0
	.section	.text._ZN2at6native32tensor_kernel_scan_innermost_dimIN3c107complexIfEESt4plusIS4_EEEvPT_PKS7_jjjS7_T0_,"axG",@progbits,_ZN2at6native32tensor_kernel_scan_innermost_dimIN3c107complexIfEESt4plusIS4_EEEvPT_PKS7_jjjS7_T0_,comdat
	.protected	_ZN2at6native32tensor_kernel_scan_innermost_dimIN3c107complexIfEESt4plusIS4_EEEvPT_PKS7_jjjS7_T0_ ; -- Begin function _ZN2at6native32tensor_kernel_scan_innermost_dimIN3c107complexIfEESt4plusIS4_EEEvPT_PKS7_jjjS7_T0_
	.globl	_ZN2at6native32tensor_kernel_scan_innermost_dimIN3c107complexIfEESt4plusIS4_EEEvPT_PKS7_jjjS7_T0_
	.p2align	8
	.type	_ZN2at6native32tensor_kernel_scan_innermost_dimIN3c107complexIfEESt4plusIS4_EEEvPT_PKS7_jjjS7_T0_,@function
_ZN2at6native32tensor_kernel_scan_innermost_dimIN3c107complexIfEESt4plusIS4_EEEvPT_PKS7_jjjS7_T0_: ; @_ZN2at6native32tensor_kernel_scan_innermost_dimIN3c107complexIfEESt4plusIS4_EEEvPT_PKS7_jjjS7_T0_
; %bb.0:
	s_load_dwordx8 s[12:19], s[0:1], 0x0
	s_load_dwordx2 s[20:21], s[0:1], 0x20
	v_bfe_u32 v2, v0, 10, 10
	s_waitcnt lgkmcnt(0)
	s_lshl_b32 s3, 2, s18
	v_mul_lo_u32 v1, s3, v2
	s_mul_hi_u32 s4, s16, s17
	v_lshl_add_u32 v18, v1, 3, 0
	s_cmp_lg_u32 s4, 0
	s_mov_b64 s[4:5], -1
	s_cbranch_scc1 .LBB96_26
; %bb.1:
	s_load_dword s6, s[0:1], 0x3c
	s_add_u32 s4, s0, 48
	s_addc_u32 s5, s1, 0
	s_waitcnt lgkmcnt(0)
	s_lshr_b32 s6, s6, 16
	s_mul_i32 s19, s2, s6
	s_cmp_ge_u32 s19, s16
	s_cbranch_scc1 .LBB96_25
; %bb.2:
	s_load_dword s27, s[4:5], 0x0
	s_lshl_b32 s26, 1, s18
	s_cmp_lg_u32 s17, 0
	s_cselect_b64 s[10:11], -1, 0
	v_and_b32_e32 v1, 0x3ff, v0
	v_lshl_add_u32 v3, v1, 3, v18
	s_lshl_b32 s4, s3, 3
	v_cndmask_b32_e64 v4, 0, 1, s[10:11]
	v_lshl_add_u32 v16, s26, 3, v3
	v_cmp_eq_u32_e64 s[8:9], 0, v1
	v_add3_u32 v17, v18, s4, -8
	s_waitcnt lgkmcnt(0)
	s_mul_i32 s27, s27, s6
	s_add_i32 s28, s18, 1
	v_cmp_ne_u32_e64 s[4:5], 1, v4
	v_mov_b32_e32 v5, 0
	s_branch .LBB96_4
.LBB96_3:                               ;   in Loop: Header=BB96_4 Depth=1
	s_add_i32 s19, s19, s27
	s_cmp_ge_u32 s19, s16
	s_cbranch_scc1 .LBB96_25
.LBB96_4:                               ; =>This Loop Header: Depth=1
                                        ;     Child Loop BB96_7 Depth 2
                                        ;       Child Loop BB96_16 Depth 3
	s_and_b64 vcc, exec, s[4:5]
	s_cbranch_vccnz .LBB96_3
; %bb.5:                                ;   in Loop: Header=BB96_4 Depth=1
	v_add_u32_e32 v10, s19, v2
	v_mul_lo_u32 v4, v10, s17
	v_lshlrev_b64 v[8:9], 3, v[4:5]
	v_lshl_add_u64 v[6:7], s[14:15], 0, v[8:9]
	v_lshl_add_u64 v[8:9], s[12:13], 0, v[8:9]
	v_cmp_gt_u32_e32 vcc, s16, v10
	v_cmp_le_u32_e64 s[6:7], s16, v10
	s_mov_b32 s29, 0
	v_mov_b64_e32 v[12:13], s[20:21]
	s_branch .LBB96_7
.LBB96_6:                               ;   in Loop: Header=BB96_7 Depth=2
	s_or_b64 exec, exec, s[22:23]
	ds_read_b64 v[12:13], v17
	s_add_i32 s29, s29, s3
	s_cmp_ge_u32 s29, s17
	s_waitcnt lgkmcnt(0)
	s_barrier
	s_cbranch_scc1 .LBB96_3
.LBB96_7:                               ;   Parent Loop BB96_4 Depth=1
                                        ; =>  This Loop Header: Depth=2
                                        ;       Child Loop BB96_16 Depth 3
	v_add_u32_e32 v4, s29, v1
	v_add_u32_e32 v10, s26, v4
	s_and_saveexec_b64 s[22:23], vcc
	s_cbranch_execz .LBB96_14
; %bb.8:                                ;   in Loop: Header=BB96_7 Depth=2
	v_cmp_gt_u32_e64 s[10:11], s17, v4
	v_mov_b64_e32 v[14:15], s[20:21]
	s_and_saveexec_b64 s[24:25], s[10:11]
	s_cbranch_execz .LBB96_10
; %bb.9:                                ;   in Loop: Header=BB96_7 Depth=2
	v_lshl_add_u64 v[14:15], v[4:5], 3, v[6:7]
	global_load_dwordx2 v[14:15], v[14:15], off
.LBB96_10:                              ;   in Loop: Header=BB96_7 Depth=2
	s_or_b64 exec, exec, s[24:25]
	s_waitcnt vmcnt(0)
	ds_write_b64 v3, v[14:15]
	v_cmp_gt_u32_e64 s[10:11], s17, v10
	v_mov_b64_e32 v[14:15], s[20:21]
	s_and_saveexec_b64 s[24:25], s[10:11]
	s_cbranch_execz .LBB96_12
; %bb.11:                               ;   in Loop: Header=BB96_7 Depth=2
	v_mov_b32_e32 v11, v5
	v_lshl_add_u64 v[14:15], v[10:11], 3, v[6:7]
	global_load_dwordx2 v[14:15], v[14:15], off
.LBB96_12:                              ;   in Loop: Header=BB96_7 Depth=2
	s_or_b64 exec, exec, s[24:25]
	s_waitcnt vmcnt(0)
	ds_write_b64 v16, v[14:15]
	s_and_b64 exec, exec, s[8:9]
	s_cbranch_execz .LBB96_14
; %bb.13:                               ;   in Loop: Header=BB96_7 Depth=2
	ds_read_b64 v[14:15], v18
	s_waitcnt lgkmcnt(0)
	v_pk_add_f32 v[12:13], v[12:13], v[14:15]
	ds_write_b64 v18, v[12:13]
.LBB96_14:                              ;   in Loop: Header=BB96_7 Depth=2
	s_or_b64 exec, exec, s[22:23]
	v_mov_b32_e32 v11, 0
	s_mov_b64 s[22:23], 0
	s_waitcnt lgkmcnt(0)
	s_barrier
	s_branch .LBB96_16
.LBB96_15:                              ;   in Loop: Header=BB96_16 Depth=3
	s_or_b64 exec, exec, s[10:11]
	v_cmp_eq_u32_e64 s[10:11], s28, v11
	s_or_b64 s[22:23], s[10:11], s[22:23]
	s_waitcnt lgkmcnt(0)
	s_barrier
	s_andn2_b64 exec, exec, s[22:23]
	s_cbranch_execz .LBB96_20
.LBB96_16:                              ;   Parent Loop BB96_4 Depth=1
                                        ;     Parent Loop BB96_7 Depth=2
                                        ; =>    This Inner Loop Header: Depth=3
	v_add_u32_e32 v12, 1, v11
	s_and_saveexec_b64 s[10:11], s[6:7]
	s_xor_b64 s[10:11], exec, s[10:11]
; %bb.17:                               ;   in Loop: Header=BB96_16 Depth=3
	v_add_u32_e32 v11, 1, v11
                                        ; implicit-def: $vgpr12
; %bb.18:                               ;   in Loop: Header=BB96_16 Depth=3
	s_andn2_saveexec_b64 s[10:11], s[10:11]
	s_cbranch_execz .LBB96_15
; %bb.19:                               ;   in Loop: Header=BB96_16 Depth=3
	v_lshlrev_b32_e64 v13, v11, 1
	v_lshrrev_b32_e32 v14, v11, v1
	v_lshl_or_b32 v13, v14, v12, v13
	v_bfm_b32 v11, v11, 0
	v_and_b32_e32 v11, v11, v1
	v_lshl_add_u32 v13, v13, 3, v18
	v_lshl_add_u32 v11, v11, 3, v13
	v_add_u32_e32 v13, -8, v13
	ds_read_b64 v[14:15], v11
	ds_read_b64 v[20:21], v13
	s_waitcnt lgkmcnt(0)
	v_pk_add_f32 v[14:15], v[20:21], v[14:15]
	ds_write_b64 v11, v[14:15]
	v_mov_b32_e32 v11, v12
	s_branch .LBB96_15
.LBB96_20:                              ;   in Loop: Header=BB96_7 Depth=2
	s_or_b64 exec, exec, s[22:23]
	s_and_saveexec_b64 s[22:23], vcc
	s_cbranch_execz .LBB96_6
; %bb.21:                               ;   in Loop: Header=BB96_7 Depth=2
	v_cmp_gt_u32_e64 s[10:11], s17, v4
	s_and_saveexec_b64 s[24:25], s[10:11]
	s_cbranch_execz .LBB96_23
; %bb.22:                               ;   in Loop: Header=BB96_7 Depth=2
	ds_read_b64 v[12:13], v3
	v_lshl_add_u64 v[14:15], v[4:5], 3, v[8:9]
	s_waitcnt lgkmcnt(0)
	global_store_dwordx2 v[14:15], v[12:13], off
.LBB96_23:                              ;   in Loop: Header=BB96_7 Depth=2
	s_or_b64 exec, exec, s[24:25]
	v_cmp_gt_u32_e64 s[10:11], s17, v10
	s_and_b64 exec, exec, s[10:11]
	s_cbranch_execz .LBB96_6
; %bb.24:                               ;   in Loop: Header=BB96_7 Depth=2
	ds_read_b64 v[12:13], v16
	v_mov_b32_e32 v11, v5
	v_lshl_add_u64 v[10:11], v[10:11], 3, v[8:9]
	s_waitcnt lgkmcnt(0)
	global_store_dwordx2 v[10:11], v[12:13], off
	s_branch .LBB96_6
.LBB96_25:
	s_mov_b64 s[4:5], 0
.LBB96_26:
	s_andn2_b64 vcc, exec, s[4:5]
	s_cbranch_vccnz .LBB96_53
; %bb.27:
	s_load_dword s3, s[0:1], 0x3c
	s_add_u32 s0, s0, 48
	s_mov_b32 s9, 0
	s_addc_u32 s1, s1, 0
	s_mov_b32 s8, s16
	s_waitcnt lgkmcnt(0)
	s_lshr_b32 s3, s3, 16
	s_mul_hi_u32 s11, s3, s2
	s_mul_i32 s10, s3, s2
	v_mov_b64_e32 v[4:5], s[8:9]
	v_cmp_ge_u64_e32 vcc, s[10:11], v[4:5]
	s_cbranch_vccnz .LBB96_53
; %bb.28:
	s_lshl_b32 s22, 1, s18
	s_load_dword s5, s[0:1], 0x0
	s_and_b32 s4, 0xffff, s3
	s_ashr_i32 s23, s22, 31
	s_cmp_lg_u32 s17, 0
	s_mov_b32 s24, s17
	s_cselect_b64 s[2:3], -1, 0
	v_and_b32_e32 v0, 0x3ff, v0
	s_lshl_b64 s[16:17], s[22:23], 1
	v_mov_b32_e32 v3, 0
	v_lshl_add_u32 v19, v0, 3, v18
	s_lshl_b32 s6, s16, 3
	v_cndmask_b32_e64 v4, 0, 1, s[2:3]
	s_mov_b32 s25, s9
	v_mov_b32_e32 v1, v3
	v_lshl_add_u32 v20, s22, 3, v19
	v_cmp_eq_u32_e64 s[0:1], 0, v0
	v_add3_u32 v21, v18, s6, -8
	s_waitcnt lgkmcnt(0)
	s_mul_i32 s33, s5, s4
	s_add_i32 s34, s18, 1
	v_cmp_ne_u32_e64 s[2:3], 1, v4
	v_mov_b64_e32 v[4:5], s[8:9]
	s_branch .LBB96_30
.LBB96_29:                              ;   in Loop: Header=BB96_30 Depth=1
	s_add_u32 s10, s10, s33
	s_addc_u32 s11, s11, 0
	v_cmp_ge_u64_e32 vcc, s[10:11], v[4:5]
	s_cbranch_vccnz .LBB96_53
.LBB96_30:                              ; =>This Loop Header: Depth=1
                                        ;     Child Loop BB96_33 Depth 2
                                        ;       Child Loop BB96_43 Depth 3
	s_and_b64 vcc, exec, s[2:3]
	s_cbranch_vccnz .LBB96_29
; %bb.31:                               ;   in Loop: Header=BB96_30 Depth=1
	v_lshl_add_u64 v[10:11], s[10:11], 0, v[2:3]
	v_mad_u64_u32 v[6:7], s[4:5], v10, s24, 0
	v_mov_b32_e32 v8, v7
	v_mad_u64_u32 v[8:9], s[4:5], v11, s24, v[8:9]
	v_mov_b32_e32 v7, v8
	v_lshlrev_b64 v[8:9], 3, v[6:7]
	v_lshl_add_u64 v[6:7], s[14:15], 0, v[8:9]
	v_lshl_add_u64 v[8:9], s[12:13], 0, v[8:9]
	v_cmp_gt_u64_e64 s[4:5], s[8:9], v[10:11]
	v_cmp_le_u64_e64 s[6:7], s[8:9], v[10:11]
	s_mov_b64 s[18:19], 0
	v_mov_b64_e32 v[14:15], s[20:21]
	s_branch .LBB96_33
.LBB96_32:                              ;   in Loop: Header=BB96_33 Depth=2
	s_or_b64 exec, exec, s[26:27]
	ds_read_b64 v[14:15], v21
	s_add_u32 s18, s18, s16
	s_addc_u32 s19, s19, s17
	v_mov_b64_e32 v[10:11], s[24:25]
	v_cmp_ge_u64_e32 vcc, s[18:19], v[10:11]
	s_waitcnt lgkmcnt(0)
	s_barrier
	s_cbranch_vccnz .LBB96_29
.LBB96_33:                              ;   Parent Loop BB96_30 Depth=1
                                        ; =>  This Loop Header: Depth=2
                                        ;       Child Loop BB96_43 Depth 3
	v_lshl_add_u64 v[12:13], s[18:19], 0, v[0:1]
	v_lshl_add_u64 v[10:11], v[12:13], 0, s[22:23]
	s_and_saveexec_b64 s[26:27], s[4:5]
	s_cbranch_execz .LBB96_40
; %bb.34:                               ;   in Loop: Header=BB96_33 Depth=2
	v_cmp_gt_u64_e32 vcc, s[24:25], v[12:13]
	v_mov_b64_e32 v[16:17], s[20:21]
	s_and_saveexec_b64 s[28:29], vcc
	s_cbranch_execz .LBB96_36
; %bb.35:                               ;   in Loop: Header=BB96_33 Depth=2
	v_lshl_add_u64 v[16:17], v[12:13], 3, v[6:7]
	global_load_dwordx2 v[16:17], v[16:17], off
.LBB96_36:                              ;   in Loop: Header=BB96_33 Depth=2
	s_or_b64 exec, exec, s[28:29]
	s_waitcnt vmcnt(0)
	ds_write_b64 v19, v[16:17]
	v_cmp_gt_u64_e32 vcc, s[24:25], v[10:11]
	v_mov_b64_e32 v[16:17], s[20:21]
	s_and_saveexec_b64 s[28:29], vcc
	s_cbranch_execz .LBB96_38
; %bb.37:                               ;   in Loop: Header=BB96_33 Depth=2
	v_lshl_add_u64 v[16:17], v[10:11], 3, v[6:7]
	global_load_dwordx2 v[16:17], v[16:17], off
.LBB96_38:                              ;   in Loop: Header=BB96_33 Depth=2
	s_or_b64 exec, exec, s[28:29]
	s_waitcnt vmcnt(0)
	ds_write_b64 v20, v[16:17]
	s_and_b64 exec, exec, s[0:1]
	s_cbranch_execz .LBB96_40
; %bb.39:                               ;   in Loop: Header=BB96_33 Depth=2
	ds_read_b64 v[16:17], v18
	s_waitcnt lgkmcnt(0)
	v_pk_add_f32 v[14:15], v[14:15], v[16:17]
	ds_write_b64 v18, v[14:15]
.LBB96_40:                              ;   in Loop: Header=BB96_33 Depth=2
	s_or_b64 exec, exec, s[26:27]
	v_mov_b32_e32 v23, 0
	s_mov_b64 s[26:27], 0
	s_waitcnt lgkmcnt(0)
	s_barrier
	s_branch .LBB96_43
.LBB96_41:                              ;   in Loop: Header=BB96_43 Depth=3
	s_or_b64 exec, exec, s[30:31]
	v_lshrrev_b32_e32 v15, v23, v0
	v_lshl_or_b32 v14, v15, v22, v14
	v_lshl_add_u32 v14, v14, 3, v18
	v_lshl_add_u32 v23, v16, 3, v14
	v_add_u32_e32 v16, -8, v14
	ds_read_b64 v[14:15], v23
	ds_read_b64 v[16:17], v16
	s_waitcnt lgkmcnt(0)
	v_pk_add_f32 v[14:15], v[16:17], v[14:15]
	ds_write_b64 v23, v[14:15]
.LBB96_42:                              ;   in Loop: Header=BB96_43 Depth=3
	s_or_b64 exec, exec, s[28:29]
	v_cmp_eq_u32_e32 vcc, s34, v22
	s_or_b64 s[26:27], vcc, s[26:27]
	v_mov_b32_e32 v23, v22
	s_waitcnt lgkmcnt(0)
	s_barrier
	s_andn2_b64 exec, exec, s[26:27]
	s_cbranch_execz .LBB96_48
.LBB96_43:                              ;   Parent Loop BB96_30 Depth=1
                                        ;     Parent Loop BB96_33 Depth=2
                                        ; =>    This Inner Loop Header: Depth=3
	v_add_u32_e32 v22, 1, v23
	s_and_saveexec_b64 s[28:29], s[6:7]
	s_xor_b64 s[28:29], exec, s[28:29]
; %bb.44:                               ;   in Loop: Header=BB96_43 Depth=3
	v_add_u32_e32 v22, 1, v23
                                        ; implicit-def: $vgpr23
; %bb.45:                               ;   in Loop: Header=BB96_43 Depth=3
	s_andn2_saveexec_b64 s[28:29], s[28:29]
	s_cbranch_execz .LBB96_42
; %bb.46:                               ;   in Loop: Header=BB96_43 Depth=3
	v_lshlrev_b32_e64 v14, v23, 1
	v_ashrrev_i32_e32 v15, 31, v14
	v_cmp_ge_u64_e32 vcc, v[0:1], v[14:15]
	v_mov_b64_e32 v[16:17], v[0:1]
	s_and_saveexec_b64 s[30:31], vcc
	s_cbranch_execz .LBB96_41
; %bb.47:                               ;   in Loop: Header=BB96_43 Depth=3
	v_cvt_f32_u32_e32 v15, v14
	v_sub_u32_e32 v16, 0, v14
	v_rcp_iflag_f32_e32 v15, v15
	s_nop 0
	v_mul_f32_e32 v15, 0x4f7ffffe, v15
	v_cvt_u32_f32_e32 v15, v15
	v_mul_lo_u32 v16, v16, v15
	v_mul_hi_u32 v16, v15, v16
	v_add_u32_e32 v15, v15, v16
	v_mul_hi_u32 v15, v0, v15
	v_mul_lo_u32 v15, v15, v14
	v_sub_u32_e32 v15, v0, v15
	v_sub_u32_e32 v16, v15, v14
	v_cmp_ge_u32_e32 vcc, v15, v14
	s_nop 1
	v_cndmask_b32_e32 v15, v15, v16, vcc
	v_sub_u32_e32 v16, v15, v14
	v_cmp_ge_u32_e32 vcc, v15, v14
	s_nop 1
	v_cndmask_b32_e32 v16, v15, v16, vcc
	s_branch .LBB96_41
.LBB96_48:                              ;   in Loop: Header=BB96_33 Depth=2
	s_or_b64 exec, exec, s[26:27]
	s_and_saveexec_b64 s[26:27], s[4:5]
	s_cbranch_execz .LBB96_32
; %bb.49:                               ;   in Loop: Header=BB96_33 Depth=2
	v_cmp_gt_u64_e32 vcc, s[24:25], v[12:13]
	s_and_saveexec_b64 s[28:29], vcc
	s_cbranch_execz .LBB96_51
; %bb.50:                               ;   in Loop: Header=BB96_33 Depth=2
	ds_read_b64 v[14:15], v19
	v_lshl_add_u64 v[12:13], v[12:13], 3, v[8:9]
	s_waitcnt lgkmcnt(0)
	global_store_dwordx2 v[12:13], v[14:15], off
.LBB96_51:                              ;   in Loop: Header=BB96_33 Depth=2
	s_or_b64 exec, exec, s[28:29]
	v_cmp_gt_u64_e32 vcc, s[24:25], v[10:11]
	s_and_b64 exec, exec, vcc
	s_cbranch_execz .LBB96_32
; %bb.52:                               ;   in Loop: Header=BB96_33 Depth=2
	ds_read_b64 v[12:13], v20
	v_lshl_add_u64 v[10:11], v[10:11], 3, v[8:9]
	s_waitcnt lgkmcnt(0)
	global_store_dwordx2 v[10:11], v[12:13], off
	s_branch .LBB96_32
.LBB96_53:
	s_endpgm
	.section	.rodata,"a",@progbits
	.p2align	6, 0x0
	.amdhsa_kernel _ZN2at6native32tensor_kernel_scan_innermost_dimIN3c107complexIfEESt4plusIS4_EEEvPT_PKS7_jjjS7_T0_
		.amdhsa_group_segment_fixed_size 0
		.amdhsa_private_segment_fixed_size 0
		.amdhsa_kernarg_size 304
		.amdhsa_user_sgpr_count 2
		.amdhsa_user_sgpr_dispatch_ptr 0
		.amdhsa_user_sgpr_queue_ptr 0
		.amdhsa_user_sgpr_kernarg_segment_ptr 1
		.amdhsa_user_sgpr_dispatch_id 0
		.amdhsa_user_sgpr_kernarg_preload_length 0
		.amdhsa_user_sgpr_kernarg_preload_offset 0
		.amdhsa_user_sgpr_private_segment_size 0
		.amdhsa_uses_dynamic_stack 0
		.amdhsa_enable_private_segment 0
		.amdhsa_system_sgpr_workgroup_id_x 1
		.amdhsa_system_sgpr_workgroup_id_y 0
		.amdhsa_system_sgpr_workgroup_id_z 0
		.amdhsa_system_sgpr_workgroup_info 0
		.amdhsa_system_vgpr_workitem_id 1
		.amdhsa_next_free_vgpr 24
		.amdhsa_next_free_sgpr 35
		.amdhsa_accum_offset 24
		.amdhsa_reserve_vcc 1
		.amdhsa_float_round_mode_32 0
		.amdhsa_float_round_mode_16_64 0
		.amdhsa_float_denorm_mode_32 3
		.amdhsa_float_denorm_mode_16_64 3
		.amdhsa_dx10_clamp 1
		.amdhsa_ieee_mode 1
		.amdhsa_fp16_overflow 0
		.amdhsa_tg_split 0
		.amdhsa_exception_fp_ieee_invalid_op 0
		.amdhsa_exception_fp_denorm_src 0
		.amdhsa_exception_fp_ieee_div_zero 0
		.amdhsa_exception_fp_ieee_overflow 0
		.amdhsa_exception_fp_ieee_underflow 0
		.amdhsa_exception_fp_ieee_inexact 0
		.amdhsa_exception_int_div_zero 0
	.end_amdhsa_kernel
	.section	.text._ZN2at6native32tensor_kernel_scan_innermost_dimIN3c107complexIfEESt4plusIS4_EEEvPT_PKS7_jjjS7_T0_,"axG",@progbits,_ZN2at6native32tensor_kernel_scan_innermost_dimIN3c107complexIfEESt4plusIS4_EEEvPT_PKS7_jjjS7_T0_,comdat
.Lfunc_end96:
	.size	_ZN2at6native32tensor_kernel_scan_innermost_dimIN3c107complexIfEESt4plusIS4_EEEvPT_PKS7_jjjS7_T0_, .Lfunc_end96-_ZN2at6native32tensor_kernel_scan_innermost_dimIN3c107complexIfEESt4plusIS4_EEEvPT_PKS7_jjjS7_T0_
                                        ; -- End function
	.set _ZN2at6native32tensor_kernel_scan_innermost_dimIN3c107complexIfEESt4plusIS4_EEEvPT_PKS7_jjjS7_T0_.num_vgpr, 24
	.set _ZN2at6native32tensor_kernel_scan_innermost_dimIN3c107complexIfEESt4plusIS4_EEEvPT_PKS7_jjjS7_T0_.num_agpr, 0
	.set _ZN2at6native32tensor_kernel_scan_innermost_dimIN3c107complexIfEESt4plusIS4_EEEvPT_PKS7_jjjS7_T0_.numbered_sgpr, 35
	.set _ZN2at6native32tensor_kernel_scan_innermost_dimIN3c107complexIfEESt4plusIS4_EEEvPT_PKS7_jjjS7_T0_.num_named_barrier, 0
	.set _ZN2at6native32tensor_kernel_scan_innermost_dimIN3c107complexIfEESt4plusIS4_EEEvPT_PKS7_jjjS7_T0_.private_seg_size, 0
	.set _ZN2at6native32tensor_kernel_scan_innermost_dimIN3c107complexIfEESt4plusIS4_EEEvPT_PKS7_jjjS7_T0_.uses_vcc, 1
	.set _ZN2at6native32tensor_kernel_scan_innermost_dimIN3c107complexIfEESt4plusIS4_EEEvPT_PKS7_jjjS7_T0_.uses_flat_scratch, 0
	.set _ZN2at6native32tensor_kernel_scan_innermost_dimIN3c107complexIfEESt4plusIS4_EEEvPT_PKS7_jjjS7_T0_.has_dyn_sized_stack, 0
	.set _ZN2at6native32tensor_kernel_scan_innermost_dimIN3c107complexIfEESt4plusIS4_EEEvPT_PKS7_jjjS7_T0_.has_recursion, 0
	.set _ZN2at6native32tensor_kernel_scan_innermost_dimIN3c107complexIfEESt4plusIS4_EEEvPT_PKS7_jjjS7_T0_.has_indirect_call, 0
	.section	.AMDGPU.csdata,"",@progbits
; Kernel info:
; codeLenInByte = 1648
; TotalNumSgprs: 41
; NumVgprs: 24
; NumAgprs: 0
; TotalNumVgprs: 24
; ScratchSize: 0
; MemoryBound: 0
; FloatMode: 240
; IeeeMode: 1
; LDSByteSize: 0 bytes/workgroup (compile time only)
; SGPRBlocks: 5
; VGPRBlocks: 2
; NumSGPRsForWavesPerEU: 41
; NumVGPRsForWavesPerEU: 24
; AccumOffset: 24
; Occupancy: 8
; WaveLimiterHint : 0
; COMPUTE_PGM_RSRC2:SCRATCH_EN: 0
; COMPUTE_PGM_RSRC2:USER_SGPR: 2
; COMPUTE_PGM_RSRC2:TRAP_HANDLER: 0
; COMPUTE_PGM_RSRC2:TGID_X_EN: 1
; COMPUTE_PGM_RSRC2:TGID_Y_EN: 0
; COMPUTE_PGM_RSRC2:TGID_Z_EN: 0
; COMPUTE_PGM_RSRC2:TIDIG_COMP_CNT: 1
; COMPUTE_PGM_RSRC3_GFX90A:ACCUM_OFFSET: 5
; COMPUTE_PGM_RSRC3_GFX90A:TG_SPLIT: 0
	.section	.text._ZN2at6native28tensor_kernel_scan_outer_dimIN3c107complexIfEEjSt4plusIS4_EEEvPT_PKS7_jjjS7_T1_,"axG",@progbits,_ZN2at6native28tensor_kernel_scan_outer_dimIN3c107complexIfEEjSt4plusIS4_EEEvPT_PKS7_jjjS7_T1_,comdat
	.protected	_ZN2at6native28tensor_kernel_scan_outer_dimIN3c107complexIfEEjSt4plusIS4_EEEvPT_PKS7_jjjS7_T1_ ; -- Begin function _ZN2at6native28tensor_kernel_scan_outer_dimIN3c107complexIfEEjSt4plusIS4_EEEvPT_PKS7_jjjS7_T1_
	.globl	_ZN2at6native28tensor_kernel_scan_outer_dimIN3c107complexIfEEjSt4plusIS4_EEEvPT_PKS7_jjjS7_T1_
	.p2align	8
	.type	_ZN2at6native28tensor_kernel_scan_outer_dimIN3c107complexIfEEjSt4plusIS4_EEEvPT_PKS7_jjjS7_T1_,@function
_ZN2at6native28tensor_kernel_scan_outer_dimIN3c107complexIfEEjSt4plusIS4_EEEvPT_PKS7_jjjS7_T1_: ; @_ZN2at6native28tensor_kernel_scan_outer_dimIN3c107complexIfEEjSt4plusIS4_EEEvPT_PKS7_jjjS7_T1_
; %bb.0:
	s_load_dwordx4 s[8:11], s[0:1], 0x10
	s_waitcnt lgkmcnt(0)
	s_cmp_ge_u32 s2, s8
	s_cbranch_scc1 .LBB97_9
; %bb.1:
	s_load_dword s11, s[0:1], 0x30
	s_load_dword s4, s[0:1], 0x3c
	s_load_dwordx4 s[12:15], s[0:1], 0x0
	s_load_dwordx2 s[6:7], s[0:1], 0x20
	s_add_u32 s16, s0, 48
	s_addc_u32 s17, s1, 0
	s_waitcnt lgkmcnt(0)
	s_and_b32 s28, s4, 0xffff
	s_mul_i32 s3, s3, s28
	s_cmp_lg_u32 s10, 0
	v_add_u32_e32 v6, s3, v0
	s_cselect_b64 s[4:5], -1, 0
	s_mul_i32 s3, s2, s10
	s_mov_b32 s19, 0
	s_mov_b32 s18, s9
	s_mul_i32 s22, s3, s9
	s_mul_i32 s3, s11, s10
	v_cndmask_b32_e64 v0, 0, 1, s[4:5]
	v_cmp_gt_u32_e64 s[0:1], s9, v6
	s_mul_i32 s3, s3, s9
	s_lshl_b64 s[20:21], s[18:19], 3
	v_cmp_ne_u32_e64 s[4:5], 1, v0
	v_mov_b32_e32 v1, 0
	s_mov_b32 s18, s22
	s_branch .LBB97_3
.LBB97_2:                               ;   in Loop: Header=BB97_3 Depth=1
	s_or_b64 exec, exec, s[22:23]
	s_add_i32 s2, s11, s2
	s_add_i32 s18, s18, s3
	s_cmp_ge_u32 s2, s8
	s_cbranch_scc1 .LBB97_9
.LBB97_3:                               ; =>This Loop Header: Depth=1
                                        ;     Child Loop BB97_6 Depth 2
                                        ;       Child Loop BB97_8 Depth 3
	s_and_saveexec_b64 s[22:23], s[0:1]
	s_cbranch_execz .LBB97_2
; %bb.4:                                ;   in Loop: Header=BB97_3 Depth=1
	s_load_dword s29, s[16:17], 0x4
	s_lshl_b64 s[24:25], s[18:19], 3
	s_mov_b64 s[26:27], 0
	v_mov_b32_e32 v0, v6
	s_waitcnt lgkmcnt(0)
	s_mul_i32 s29, s29, s28
	s_branch .LBB97_6
.LBB97_5:                               ;   in Loop: Header=BB97_6 Depth=2
	v_add_u32_e32 v0, s29, v0
	v_cmp_le_u32_e32 vcc, s9, v0
	s_or_b64 s[26:27], vcc, s[26:27]
	s_andn2_b64 exec, exec, s[26:27]
	s_cbranch_execz .LBB97_2
.LBB97_6:                               ;   Parent Loop BB97_3 Depth=1
                                        ; =>  This Loop Header: Depth=2
                                        ;       Child Loop BB97_8 Depth 3
	s_and_b64 vcc, exec, s[4:5]
	s_cbranch_vccnz .LBB97_5
; %bb.7:                                ;   in Loop: Header=BB97_6 Depth=2
	v_lshl_add_u64 v[2:3], v[0:1], 3, s[24:25]
	v_mov_b32_e32 v5, s7
	v_mov_b32_e32 v4, s6
	s_mov_b32 s30, s10
.LBB97_8:                               ;   Parent Loop BB97_3 Depth=1
                                        ;     Parent Loop BB97_6 Depth=2
                                        ; =>    This Inner Loop Header: Depth=3
	v_lshl_add_u64 v[8:9], s[14:15], 0, v[2:3]
	global_load_dwordx2 v[8:9], v[8:9], off
	s_add_i32 s30, s30, -1
	v_lshl_add_u64 v[10:11], s[12:13], 0, v[2:3]
	v_lshl_add_u64 v[2:3], v[2:3], 0, s[20:21]
	s_cmp_eq_u32 s30, 0
	s_waitcnt vmcnt(0)
	v_add_f32_e32 v4, v4, v8
	v_add_f32_e32 v5, v5, v9
	global_store_dwordx2 v[10:11], v[4:5], off
	s_cbranch_scc0 .LBB97_8
	s_branch .LBB97_5
.LBB97_9:
	s_endpgm
	.section	.rodata,"a",@progbits
	.p2align	6, 0x0
	.amdhsa_kernel _ZN2at6native28tensor_kernel_scan_outer_dimIN3c107complexIfEEjSt4plusIS4_EEEvPT_PKS7_jjjS7_T1_
		.amdhsa_group_segment_fixed_size 0
		.amdhsa_private_segment_fixed_size 0
		.amdhsa_kernarg_size 304
		.amdhsa_user_sgpr_count 2
		.amdhsa_user_sgpr_dispatch_ptr 0
		.amdhsa_user_sgpr_queue_ptr 0
		.amdhsa_user_sgpr_kernarg_segment_ptr 1
		.amdhsa_user_sgpr_dispatch_id 0
		.amdhsa_user_sgpr_kernarg_preload_length 0
		.amdhsa_user_sgpr_kernarg_preload_offset 0
		.amdhsa_user_sgpr_private_segment_size 0
		.amdhsa_uses_dynamic_stack 0
		.amdhsa_enable_private_segment 0
		.amdhsa_system_sgpr_workgroup_id_x 1
		.amdhsa_system_sgpr_workgroup_id_y 1
		.amdhsa_system_sgpr_workgroup_id_z 0
		.amdhsa_system_sgpr_workgroup_info 0
		.amdhsa_system_vgpr_workitem_id 0
		.amdhsa_next_free_vgpr 12
		.amdhsa_next_free_sgpr 31
		.amdhsa_accum_offset 12
		.amdhsa_reserve_vcc 1
		.amdhsa_float_round_mode_32 0
		.amdhsa_float_round_mode_16_64 0
		.amdhsa_float_denorm_mode_32 3
		.amdhsa_float_denorm_mode_16_64 3
		.amdhsa_dx10_clamp 1
		.amdhsa_ieee_mode 1
		.amdhsa_fp16_overflow 0
		.amdhsa_tg_split 0
		.amdhsa_exception_fp_ieee_invalid_op 0
		.amdhsa_exception_fp_denorm_src 0
		.amdhsa_exception_fp_ieee_div_zero 0
		.amdhsa_exception_fp_ieee_overflow 0
		.amdhsa_exception_fp_ieee_underflow 0
		.amdhsa_exception_fp_ieee_inexact 0
		.amdhsa_exception_int_div_zero 0
	.end_amdhsa_kernel
	.section	.text._ZN2at6native28tensor_kernel_scan_outer_dimIN3c107complexIfEEjSt4plusIS4_EEEvPT_PKS7_jjjS7_T1_,"axG",@progbits,_ZN2at6native28tensor_kernel_scan_outer_dimIN3c107complexIfEEjSt4plusIS4_EEEvPT_PKS7_jjjS7_T1_,comdat
.Lfunc_end97:
	.size	_ZN2at6native28tensor_kernel_scan_outer_dimIN3c107complexIfEEjSt4plusIS4_EEEvPT_PKS7_jjjS7_T1_, .Lfunc_end97-_ZN2at6native28tensor_kernel_scan_outer_dimIN3c107complexIfEEjSt4plusIS4_EEEvPT_PKS7_jjjS7_T1_
                                        ; -- End function
	.set _ZN2at6native28tensor_kernel_scan_outer_dimIN3c107complexIfEEjSt4plusIS4_EEEvPT_PKS7_jjjS7_T1_.num_vgpr, 12
	.set _ZN2at6native28tensor_kernel_scan_outer_dimIN3c107complexIfEEjSt4plusIS4_EEEvPT_PKS7_jjjS7_T1_.num_agpr, 0
	.set _ZN2at6native28tensor_kernel_scan_outer_dimIN3c107complexIfEEjSt4plusIS4_EEEvPT_PKS7_jjjS7_T1_.numbered_sgpr, 31
	.set _ZN2at6native28tensor_kernel_scan_outer_dimIN3c107complexIfEEjSt4plusIS4_EEEvPT_PKS7_jjjS7_T1_.num_named_barrier, 0
	.set _ZN2at6native28tensor_kernel_scan_outer_dimIN3c107complexIfEEjSt4plusIS4_EEEvPT_PKS7_jjjS7_T1_.private_seg_size, 0
	.set _ZN2at6native28tensor_kernel_scan_outer_dimIN3c107complexIfEEjSt4plusIS4_EEEvPT_PKS7_jjjS7_T1_.uses_vcc, 1
	.set _ZN2at6native28tensor_kernel_scan_outer_dimIN3c107complexIfEEjSt4plusIS4_EEEvPT_PKS7_jjjS7_T1_.uses_flat_scratch, 0
	.set _ZN2at6native28tensor_kernel_scan_outer_dimIN3c107complexIfEEjSt4plusIS4_EEEvPT_PKS7_jjjS7_T1_.has_dyn_sized_stack, 0
	.set _ZN2at6native28tensor_kernel_scan_outer_dimIN3c107complexIfEEjSt4plusIS4_EEEvPT_PKS7_jjjS7_T1_.has_recursion, 0
	.set _ZN2at6native28tensor_kernel_scan_outer_dimIN3c107complexIfEEjSt4plusIS4_EEEvPT_PKS7_jjjS7_T1_.has_indirect_call, 0
	.section	.AMDGPU.csdata,"",@progbits
; Kernel info:
; codeLenInByte = 332
; TotalNumSgprs: 37
; NumVgprs: 12
; NumAgprs: 0
; TotalNumVgprs: 12
; ScratchSize: 0
; MemoryBound: 0
; FloatMode: 240
; IeeeMode: 1
; LDSByteSize: 0 bytes/workgroup (compile time only)
; SGPRBlocks: 4
; VGPRBlocks: 1
; NumSGPRsForWavesPerEU: 37
; NumVGPRsForWavesPerEU: 12
; AccumOffset: 12
; Occupancy: 8
; WaveLimiterHint : 0
; COMPUTE_PGM_RSRC2:SCRATCH_EN: 0
; COMPUTE_PGM_RSRC2:USER_SGPR: 2
; COMPUTE_PGM_RSRC2:TRAP_HANDLER: 0
; COMPUTE_PGM_RSRC2:TGID_X_EN: 1
; COMPUTE_PGM_RSRC2:TGID_Y_EN: 1
; COMPUTE_PGM_RSRC2:TGID_Z_EN: 0
; COMPUTE_PGM_RSRC2:TIDIG_COMP_CNT: 0
; COMPUTE_PGM_RSRC3_GFX90A:ACCUM_OFFSET: 2
; COMPUTE_PGM_RSRC3_GFX90A:TG_SPLIT: 0
	.section	.text._ZN2at6native28tensor_kernel_scan_outer_dimIN3c107complexIfEEmSt4plusIS4_EEEvPT_PKS7_jjjS7_T1_,"axG",@progbits,_ZN2at6native28tensor_kernel_scan_outer_dimIN3c107complexIfEEmSt4plusIS4_EEEvPT_PKS7_jjjS7_T1_,comdat
	.protected	_ZN2at6native28tensor_kernel_scan_outer_dimIN3c107complexIfEEmSt4plusIS4_EEEvPT_PKS7_jjjS7_T1_ ; -- Begin function _ZN2at6native28tensor_kernel_scan_outer_dimIN3c107complexIfEEmSt4plusIS4_EEEvPT_PKS7_jjjS7_T1_
	.globl	_ZN2at6native28tensor_kernel_scan_outer_dimIN3c107complexIfEEmSt4plusIS4_EEEvPT_PKS7_jjjS7_T1_
	.p2align	8
	.type	_ZN2at6native28tensor_kernel_scan_outer_dimIN3c107complexIfEEmSt4plusIS4_EEEvPT_PKS7_jjjS7_T1_,@function
_ZN2at6native28tensor_kernel_scan_outer_dimIN3c107complexIfEEmSt4plusIS4_EEEvPT_PKS7_jjjS7_T1_: ; @_ZN2at6native28tensor_kernel_scan_outer_dimIN3c107complexIfEEmSt4plusIS4_EEEvPT_PKS7_jjjS7_T1_
; %bb.0:
	s_load_dwordx4 s[8:11], s[0:1], 0x10
	s_waitcnt lgkmcnt(0)
	s_cmp_ge_u32 s2, s8
	s_cbranch_scc1 .LBB98_9
; %bb.1:
	s_load_dword s11, s[0:1], 0x30
	s_load_dword s4, s[0:1], 0x3c
	s_load_dwordx4 s[12:15], s[0:1], 0x0
	s_load_dwordx2 s[6:7], s[0:1], 0x20
	s_add_u32 s16, s0, 48
	s_addc_u32 s17, s1, 0
	s_waitcnt lgkmcnt(0)
	s_and_b32 s28, s4, 0xffff
	s_cmp_lg_u32 s10, 0
	s_mul_i32 s3, s3, s28
	s_cselect_b64 s[22:23], -1, 0
	v_add_u32_e32 v6, s3, v0
	s_mov_b32 s5, 0
	s_mov_b32 s4, s9
	s_mul_hi_u32 s19, s10, s9
	s_mul_i32 s18, s10, s9
	v_cndmask_b32_e64 v0, 0, 1, s[22:23]
	v_cmp_gt_u32_e64 s[0:1], s9, v6
	s_lshl_b64 s[18:19], s[18:19], 3
	s_lshl_b64 s[20:21], s[4:5], 3
	v_cmp_ne_u32_e64 s[4:5], 1, v0
	v_mov_b32_e32 v1, 0
	s_branch .LBB98_3
.LBB98_2:                               ;   in Loop: Header=BB98_3 Depth=1
	s_or_b64 exec, exec, s[22:23]
	s_add_i32 s2, s2, s11
	s_cmp_ge_u32 s2, s8
	s_cbranch_scc1 .LBB98_9
.LBB98_3:                               ; =>This Loop Header: Depth=1
                                        ;     Child Loop BB98_6 Depth 2
                                        ;       Child Loop BB98_8 Depth 3
	s_and_saveexec_b64 s[22:23], s[0:1]
	s_cbranch_execz .LBB98_2
; %bb.4:                                ;   in Loop: Header=BB98_3 Depth=1
	s_load_dword s3, s[16:17], 0x4
	s_mul_i32 s25, s19, s2
	s_mul_hi_u32 s26, s18, s2
	s_mul_i32 s24, s18, s2
	s_add_i32 s25, s26, s25
	s_waitcnt lgkmcnt(0)
	s_mul_i32 s3, s3, s28
	s_mov_b64 s[26:27], 0
	v_mov_b32_e32 v0, v6
	s_branch .LBB98_6
.LBB98_5:                               ;   in Loop: Header=BB98_6 Depth=2
	v_add_u32_e32 v0, s3, v0
	v_cmp_le_u32_e32 vcc, s9, v0
	s_or_b64 s[26:27], vcc, s[26:27]
	s_andn2_b64 exec, exec, s[26:27]
	s_cbranch_execz .LBB98_2
.LBB98_6:                               ;   Parent Loop BB98_3 Depth=1
                                        ; =>  This Loop Header: Depth=2
                                        ;       Child Loop BB98_8 Depth 3
	s_and_b64 vcc, exec, s[4:5]
	s_cbranch_vccnz .LBB98_5
; %bb.7:                                ;   in Loop: Header=BB98_6 Depth=2
	v_lshl_add_u64 v[2:3], v[0:1], 3, s[24:25]
	v_mov_b32_e32 v5, s7
	v_mov_b32_e32 v4, s6
	s_mov_b32 s29, s10
.LBB98_8:                               ;   Parent Loop BB98_3 Depth=1
                                        ;     Parent Loop BB98_6 Depth=2
                                        ; =>    This Inner Loop Header: Depth=3
	v_lshl_add_u64 v[8:9], s[14:15], 0, v[2:3]
	global_load_dwordx2 v[8:9], v[8:9], off
	s_add_i32 s29, s29, -1
	v_lshl_add_u64 v[10:11], s[12:13], 0, v[2:3]
	v_lshl_add_u64 v[2:3], v[2:3], 0, s[20:21]
	s_cmp_eq_u32 s29, 0
	s_waitcnt vmcnt(0)
	v_add_f32_e32 v4, v4, v8
	v_add_f32_e32 v5, v5, v9
	global_store_dwordx2 v[10:11], v[4:5], off
	s_cbranch_scc0 .LBB98_8
	s_branch .LBB98_5
.LBB98_9:
	s_endpgm
	.section	.rodata,"a",@progbits
	.p2align	6, 0x0
	.amdhsa_kernel _ZN2at6native28tensor_kernel_scan_outer_dimIN3c107complexIfEEmSt4plusIS4_EEEvPT_PKS7_jjjS7_T1_
		.amdhsa_group_segment_fixed_size 0
		.amdhsa_private_segment_fixed_size 0
		.amdhsa_kernarg_size 304
		.amdhsa_user_sgpr_count 2
		.amdhsa_user_sgpr_dispatch_ptr 0
		.amdhsa_user_sgpr_queue_ptr 0
		.amdhsa_user_sgpr_kernarg_segment_ptr 1
		.amdhsa_user_sgpr_dispatch_id 0
		.amdhsa_user_sgpr_kernarg_preload_length 0
		.amdhsa_user_sgpr_kernarg_preload_offset 0
		.amdhsa_user_sgpr_private_segment_size 0
		.amdhsa_uses_dynamic_stack 0
		.amdhsa_enable_private_segment 0
		.amdhsa_system_sgpr_workgroup_id_x 1
		.amdhsa_system_sgpr_workgroup_id_y 1
		.amdhsa_system_sgpr_workgroup_id_z 0
		.amdhsa_system_sgpr_workgroup_info 0
		.amdhsa_system_vgpr_workitem_id 0
		.amdhsa_next_free_vgpr 12
		.amdhsa_next_free_sgpr 30
		.amdhsa_accum_offset 12
		.amdhsa_reserve_vcc 1
		.amdhsa_float_round_mode_32 0
		.amdhsa_float_round_mode_16_64 0
		.amdhsa_float_denorm_mode_32 3
		.amdhsa_float_denorm_mode_16_64 3
		.amdhsa_dx10_clamp 1
		.amdhsa_ieee_mode 1
		.amdhsa_fp16_overflow 0
		.amdhsa_tg_split 0
		.amdhsa_exception_fp_ieee_invalid_op 0
		.amdhsa_exception_fp_denorm_src 0
		.amdhsa_exception_fp_ieee_div_zero 0
		.amdhsa_exception_fp_ieee_overflow 0
		.amdhsa_exception_fp_ieee_underflow 0
		.amdhsa_exception_fp_ieee_inexact 0
		.amdhsa_exception_int_div_zero 0
	.end_amdhsa_kernel
	.section	.text._ZN2at6native28tensor_kernel_scan_outer_dimIN3c107complexIfEEmSt4plusIS4_EEEvPT_PKS7_jjjS7_T1_,"axG",@progbits,_ZN2at6native28tensor_kernel_scan_outer_dimIN3c107complexIfEEmSt4plusIS4_EEEvPT_PKS7_jjjS7_T1_,comdat
.Lfunc_end98:
	.size	_ZN2at6native28tensor_kernel_scan_outer_dimIN3c107complexIfEEmSt4plusIS4_EEEvPT_PKS7_jjjS7_T1_, .Lfunc_end98-_ZN2at6native28tensor_kernel_scan_outer_dimIN3c107complexIfEEmSt4plusIS4_EEEvPT_PKS7_jjjS7_T1_
                                        ; -- End function
	.set _ZN2at6native28tensor_kernel_scan_outer_dimIN3c107complexIfEEmSt4plusIS4_EEEvPT_PKS7_jjjS7_T1_.num_vgpr, 12
	.set _ZN2at6native28tensor_kernel_scan_outer_dimIN3c107complexIfEEmSt4plusIS4_EEEvPT_PKS7_jjjS7_T1_.num_agpr, 0
	.set _ZN2at6native28tensor_kernel_scan_outer_dimIN3c107complexIfEEmSt4plusIS4_EEEvPT_PKS7_jjjS7_T1_.numbered_sgpr, 30
	.set _ZN2at6native28tensor_kernel_scan_outer_dimIN3c107complexIfEEmSt4plusIS4_EEEvPT_PKS7_jjjS7_T1_.num_named_barrier, 0
	.set _ZN2at6native28tensor_kernel_scan_outer_dimIN3c107complexIfEEmSt4plusIS4_EEEvPT_PKS7_jjjS7_T1_.private_seg_size, 0
	.set _ZN2at6native28tensor_kernel_scan_outer_dimIN3c107complexIfEEmSt4plusIS4_EEEvPT_PKS7_jjjS7_T1_.uses_vcc, 1
	.set _ZN2at6native28tensor_kernel_scan_outer_dimIN3c107complexIfEEmSt4plusIS4_EEEvPT_PKS7_jjjS7_T1_.uses_flat_scratch, 0
	.set _ZN2at6native28tensor_kernel_scan_outer_dimIN3c107complexIfEEmSt4plusIS4_EEEvPT_PKS7_jjjS7_T1_.has_dyn_sized_stack, 0
	.set _ZN2at6native28tensor_kernel_scan_outer_dimIN3c107complexIfEEmSt4plusIS4_EEEvPT_PKS7_jjjS7_T1_.has_recursion, 0
	.set _ZN2at6native28tensor_kernel_scan_outer_dimIN3c107complexIfEEmSt4plusIS4_EEEvPT_PKS7_jjjS7_T1_.has_indirect_call, 0
	.section	.AMDGPU.csdata,"",@progbits
; Kernel info:
; codeLenInByte = 332
; TotalNumSgprs: 36
; NumVgprs: 12
; NumAgprs: 0
; TotalNumVgprs: 12
; ScratchSize: 0
; MemoryBound: 0
; FloatMode: 240
; IeeeMode: 1
; LDSByteSize: 0 bytes/workgroup (compile time only)
; SGPRBlocks: 4
; VGPRBlocks: 1
; NumSGPRsForWavesPerEU: 36
; NumVGPRsForWavesPerEU: 12
; AccumOffset: 12
; Occupancy: 8
; WaveLimiterHint : 0
; COMPUTE_PGM_RSRC2:SCRATCH_EN: 0
; COMPUTE_PGM_RSRC2:USER_SGPR: 2
; COMPUTE_PGM_RSRC2:TRAP_HANDLER: 0
; COMPUTE_PGM_RSRC2:TGID_X_EN: 1
; COMPUTE_PGM_RSRC2:TGID_Y_EN: 1
; COMPUTE_PGM_RSRC2:TGID_Z_EN: 0
; COMPUTE_PGM_RSRC2:TIDIG_COMP_CNT: 0
; COMPUTE_PGM_RSRC3_GFX90A:ACCUM_OFFSET: 2
; COMPUTE_PGM_RSRC3_GFX90A:TG_SPLIT: 0
	.section	.text._ZN2at4cuda3cub15calc_block_sumsILi512ELi16ELb0EN3c104HalfES4_EEvPKT2_PT3_li,"axG",@progbits,_ZN2at4cuda3cub15calc_block_sumsILi512ELi16ELb0EN3c104HalfES4_EEvPKT2_PT3_li,comdat
	.protected	_ZN2at4cuda3cub15calc_block_sumsILi512ELi16ELb0EN3c104HalfES4_EEvPKT2_PT3_li ; -- Begin function _ZN2at4cuda3cub15calc_block_sumsILi512ELi16ELb0EN3c104HalfES4_EEvPKT2_PT3_li
	.globl	_ZN2at4cuda3cub15calc_block_sumsILi512ELi16ELb0EN3c104HalfES4_EEvPKT2_PT3_li
	.p2align	8
	.type	_ZN2at4cuda3cub15calc_block_sumsILi512ELi16ELb0EN3c104HalfES4_EEvPKT2_PT3_li,@function
_ZN2at4cuda3cub15calc_block_sumsILi512ELi16ELb0EN3c104HalfES4_EEvPKT2_PT3_li: ; @_ZN2at4cuda3cub15calc_block_sumsILi512ELi16ELb0EN3c104HalfES4_EEvPKT2_PT3_li
; %bb.0:
	s_load_dword s14, s[0:1], 0x18
	s_load_dwordx2 s[4:5], s[0:1], 0x10
	s_waitcnt lgkmcnt(0)
	s_lshl_b32 s3, s14, 13
	s_ashr_i32 s6, s3, 31
	s_mul_hi_u32 s7, s3, s2
	s_mul_i32 s6, s6, s2
	s_add_i32 s11, s7, s6
	s_mul_i32 s10, s3, s2
	s_sub_u32 s8, s4, s10
	s_subb_u32 s9, s5, s11
	v_cmp_lt_i64_e64 s[4:5], s[8:9], 1
	s_and_b64 vcc, exec, s[4:5]
	s_cbranch_vccnz .LBB99_56
; %bb.1:
	s_load_dwordx4 s[4:7], s[0:1], 0x0
	s_cmp_gt_i32 s14, 0
	s_mov_b32 s3, 0
	s_cbranch_scc1 .LBB99_3
; %bb.2:
	s_mov_b64 s[0:1], -1
	v_mov_b32_e32 v3, 0
	s_cbranch_execz .LBB99_4
	s_branch .LBB99_53
.LBB99_3:
	s_mov_b64 s[0:1], 0
	v_mov_b32_e32 v3, 0
.LBB99_4:
	s_lshl_b64 s[10:11], s[10:11], 1
	v_lshrrev_b32_e32 v2, 5, v0
	s_waitcnt lgkmcnt(0)
	s_add_u32 s4, s4, s10
	v_and_b32_e32 v24, 30, v2
	v_lshlrev_b32_e32 v2, 1, v0
	v_mov_b32_e32 v3, 0
	s_addc_u32 s5, s5, s11
	v_lshl_add_u64 v[4:5], s[4:5], 0, v[2:3]
	v_mbcnt_lo_u32_b32 v2, -1, 0
	v_add_u32_e32 v1, 0x200, v0
	v_or_b32_e32 v10, 0x400, v0
	v_add_u32_e32 v11, 0x600, v0
	v_or_b32_e32 v12, 0x800, v0
	;; [unrolled: 2-line block ×7, first 2 shown]
	v_add_u32_e32 v23, 0x1e00, v0
	v_cmp_gt_u32_e64 s[0:1], 64, v0
	v_mov_b64_e32 v[6:7], 0x2000
	s_mov_b64 s[4:5], 0x4000
	v_mbcnt_hi_u32_b32 v2, -1, v2
	v_mov_b64_e32 v[8:9], 0x2001
	s_branch .LBB99_6
.LBB99_5:                               ;   in Loop: Header=BB99_6 Depth=1
	s_andn2_b64 vcc, exec, s[12:13]
	s_cbranch_vccz .LBB99_52
.LBB99_6:                               ; =>This Inner Loop Header: Depth=1
	v_cmp_lt_i64_e32 vcc, s[8:9], v[6:7]
	s_mov_b64 s[10:11], -1
                                        ; implicit-def: $vgpr25
	s_cbranch_vccz .LBB99_44
; %bb.7:                                ;   in Loop: Header=BB99_6 Depth=1
	v_cmp_gt_u32_e32 vcc, s8, v0
	v_mov_b32_e32 v25, 0
	v_mov_b32_e32 v26, 0
	s_and_saveexec_b64 s[10:11], vcc
	s_cbranch_execz .LBB99_9
; %bb.8:                                ;   in Loop: Header=BB99_6 Depth=1
	global_load_ushort v26, v[4:5], off
.LBB99_9:                               ;   in Loop: Header=BB99_6 Depth=1
	s_or_b64 exec, exec, s[10:11]
	v_cmp_gt_u32_e32 vcc, s8, v1
	s_and_saveexec_b64 s[10:11], vcc
	s_cbranch_execz .LBB99_11
; %bb.10:                               ;   in Loop: Header=BB99_6 Depth=1
	global_load_ushort v25, v[4:5], off offset:1024
.LBB99_11:                              ;   in Loop: Header=BB99_6 Depth=1
	s_or_b64 exec, exec, s[10:11]
	v_cmp_gt_u32_e32 vcc, s8, v10
	v_mov_b32_e32 v27, 0
	v_mov_b32_e32 v28, 0
	s_and_saveexec_b64 s[10:11], vcc
	s_cbranch_execz .LBB99_13
; %bb.12:                               ;   in Loop: Header=BB99_6 Depth=1
	global_load_ushort v28, v[4:5], off offset:2048
.LBB99_13:                              ;   in Loop: Header=BB99_6 Depth=1
	s_or_b64 exec, exec, s[10:11]
	v_cmp_gt_u32_e32 vcc, s8, v11
	s_and_saveexec_b64 s[10:11], vcc
	s_cbranch_execz .LBB99_15
; %bb.14:                               ;   in Loop: Header=BB99_6 Depth=1
	global_load_ushort v27, v[4:5], off offset:3072
.LBB99_15:                              ;   in Loop: Header=BB99_6 Depth=1
	s_or_b64 exec, exec, s[10:11]
	v_cmp_gt_u32_e32 vcc, s8, v12
	v_mov_b32_e32 v29, 0
	v_mov_b32_e32 v30, 0
	s_and_saveexec_b64 s[10:11], vcc
	s_cbranch_execz .LBB99_17
; %bb.16:                               ;   in Loop: Header=BB99_6 Depth=1
	v_add_co_u32_e32 v30, vcc, 0x1000, v4
	s_nop 1
	v_addc_co_u32_e32 v31, vcc, 0, v5, vcc
	global_load_ushort v30, v[30:31], off
.LBB99_17:                              ;   in Loop: Header=BB99_6 Depth=1
	s_or_b64 exec, exec, s[10:11]
	v_cmp_gt_u32_e32 vcc, s8, v13
	s_and_saveexec_b64 s[10:11], vcc
	s_cbranch_execz .LBB99_19
; %bb.18:                               ;   in Loop: Header=BB99_6 Depth=1
	v_add_co_u32_e32 v32, vcc, 0x1000, v4
	s_nop 1
	v_addc_co_u32_e32 v33, vcc, 0, v5, vcc
	global_load_ushort v29, v[32:33], off offset:1024
.LBB99_19:                              ;   in Loop: Header=BB99_6 Depth=1
	s_or_b64 exec, exec, s[10:11]
	v_cmp_gt_u32_e32 vcc, s8, v14
	v_mov_b32_e32 v31, 0
	v_mov_b32_e32 v32, 0
	s_and_saveexec_b64 s[10:11], vcc
	s_cbranch_execz .LBB99_21
; %bb.20:                               ;   in Loop: Header=BB99_6 Depth=1
	v_add_co_u32_e32 v32, vcc, 0x1000, v4
	s_nop 1
	v_addc_co_u32_e32 v33, vcc, 0, v5, vcc
	global_load_ushort v32, v[32:33], off offset:2048
.LBB99_21:                              ;   in Loop: Header=BB99_6 Depth=1
	s_or_b64 exec, exec, s[10:11]
	v_cmp_gt_u32_e32 vcc, s8, v15
	s_and_saveexec_b64 s[10:11], vcc
	s_cbranch_execz .LBB99_23
; %bb.22:                               ;   in Loop: Header=BB99_6 Depth=1
	v_add_co_u32_e32 v34, vcc, 0x1000, v4
	s_nop 1
	v_addc_co_u32_e32 v35, vcc, 0, v5, vcc
	global_load_ushort v31, v[34:35], off offset:3072
.LBB99_23:                              ;   in Loop: Header=BB99_6 Depth=1
	s_or_b64 exec, exec, s[10:11]
	v_cmp_gt_u32_e32 vcc, s8, v16
	v_mov_b32_e32 v33, 0
	v_mov_b32_e32 v34, 0
	s_and_saveexec_b64 s[10:11], vcc
	s_cbranch_execz .LBB99_25
; %bb.24:                               ;   in Loop: Header=BB99_6 Depth=1
	v_add_co_u32_e32 v34, vcc, 0x2000, v4
	s_nop 1
	v_addc_co_u32_e32 v35, vcc, 0, v5, vcc
	global_load_ushort v34, v[34:35], off
.LBB99_25:                              ;   in Loop: Header=BB99_6 Depth=1
	s_or_b64 exec, exec, s[10:11]
	v_cmp_gt_u32_e32 vcc, s8, v17
	s_and_saveexec_b64 s[10:11], vcc
	s_cbranch_execz .LBB99_27
; %bb.26:                               ;   in Loop: Header=BB99_6 Depth=1
	v_add_co_u32_e32 v36, vcc, 0x2000, v4
	s_nop 1
	v_addc_co_u32_e32 v37, vcc, 0, v5, vcc
	global_load_ushort v33, v[36:37], off offset:1024
.LBB99_27:                              ;   in Loop: Header=BB99_6 Depth=1
	s_or_b64 exec, exec, s[10:11]
	v_cmp_gt_u32_e32 vcc, s8, v18
	v_mov_b32_e32 v35, 0
	v_mov_b32_e32 v36, 0
	s_and_saveexec_b64 s[10:11], vcc
	s_cbranch_execz .LBB99_29
; %bb.28:                               ;   in Loop: Header=BB99_6 Depth=1
	v_add_co_u32_e32 v36, vcc, 0x2000, v4
	s_nop 1
	v_addc_co_u32_e32 v37, vcc, 0, v5, vcc
	global_load_ushort v36, v[36:37], off offset:2048
.LBB99_29:                              ;   in Loop: Header=BB99_6 Depth=1
	s_or_b64 exec, exec, s[10:11]
	v_cmp_gt_u32_e32 vcc, s8, v19
	s_and_saveexec_b64 s[10:11], vcc
	s_cbranch_execz .LBB99_31
; %bb.30:                               ;   in Loop: Header=BB99_6 Depth=1
	v_add_co_u32_e32 v38, vcc, 0x2000, v4
	s_nop 1
	v_addc_co_u32_e32 v39, vcc, 0, v5, vcc
	global_load_ushort v35, v[38:39], off offset:3072
.LBB99_31:                              ;   in Loop: Header=BB99_6 Depth=1
	;; [unrolled: 44-line block ×3, first 2 shown]
	s_or_b64 exec, exec, s[10:11]
	s_waitcnt vmcnt(0)
	v_add_f16_e32 v25, v26, v25
	v_add_f16_e32 v25, v25, v28
	;; [unrolled: 1-line block ×15, first 2 shown]
	v_cmp_eq_u32_e32 vcc, 0, v2
	s_nop 0
	v_mov_b32_dpp v26, v25 quad_perm:[1,0,3,2] row_mask:0xf bank_mask:0xf
	v_add_f16_e32 v25, v25, v26
	s_barrier
	s_nop 0
	v_mov_b32_dpp v26, v25 quad_perm:[2,3,0,1] row_mask:0xf bank_mask:0xf
	v_add_f16_e32 v25, v25, v26
	s_nop 1
	v_mov_b32_dpp v26, v25 row_ror:4 row_mask:0xf bank_mask:0xf
	v_add_f16_e32 v25, v25, v26
	s_nop 1
	v_mov_b32_dpp v26, v25 row_ror:8 row_mask:0xf bank_mask:0xf
	v_add_f16_e32 v25, v25, v26
	s_nop 1
	v_mov_b32_dpp v26, v25 row_bcast:15 row_mask:0xf bank_mask:0xf
	v_add_f16_e32 v25, v25, v26
	s_nop 1
	v_mov_b32_dpp v26, v25 row_bcast:31 row_mask:0xf bank_mask:0xf
	v_add_f16_e32 v25, v25, v26
	v_lshlrev_b32_e32 v26, 2, v2
	v_or_b32_e32 v27, 0xfc, v26
	ds_bpermute_b32 v25, v27, v25
	s_and_saveexec_b64 s[10:11], vcc
	s_cbranch_execz .LBB99_41
; %bb.40:                               ;   in Loop: Header=BB99_6 Depth=1
	s_waitcnt lgkmcnt(0)
	ds_write_b16 v24, v25
.LBB99_41:                              ;   in Loop: Header=BB99_6 Depth=1
	s_or_b64 exec, exec, s[10:11]
	s_waitcnt lgkmcnt(0)
	s_barrier
	s_and_saveexec_b64 s[10:11], s[0:1]
	s_cbranch_execz .LBB99_43
; %bb.42:                               ;   in Loop: Header=BB99_6 Depth=1
	v_and_b32_e32 v25, 7, v2
	v_lshlrev_b32_e32 v27, 1, v25
	ds_read_u16 v27, v27
	v_cmp_ne_u32_e32 vcc, 7, v25
	v_or_b32_e32 v26, 16, v26
	s_waitcnt lgkmcnt(0)
	v_and_b32_e32 v29, 0xffff, v27
	v_addc_co_u32_e32 v28, vcc, 0, v2, vcc
	v_lshlrev_b32_e32 v28, 2, v28
	ds_bpermute_b32 v28, v28, v29
	v_cmp_gt_u32_e32 vcc, 6, v25
	s_waitcnt lgkmcnt(0)
	v_add_f16_e32 v27, v27, v28
	v_cndmask_b32_e64 v25, 0, 2, vcc
	v_add_lshl_u32 v25, v25, v2, 2
	ds_bpermute_b32 v25, v25, v27
	s_waitcnt lgkmcnt(0)
	v_add_f16_e32 v25, v27, v25
	ds_bpermute_b32 v26, v26, v25
	s_waitcnt lgkmcnt(0)
	v_add_f16_e32 v25, v25, v26
.LBB99_43:                              ;   in Loop: Header=BB99_6 Depth=1
	s_or_b64 exec, exec, s[10:11]
	s_mov_b64 s[10:11], 0
.LBB99_44:                              ;   in Loop: Header=BB99_6 Depth=1
	s_and_b64 vcc, exec, s[10:11]
	s_cbranch_vccz .LBB99_50
; %bb.45:                               ;   in Loop: Header=BB99_6 Depth=1
	global_load_ushort v25, v[4:5], off
	global_load_ushort v30, v[4:5], off offset:1024
	global_load_ushort v31, v[4:5], off offset:2048
	;; [unrolled: 1-line block ×3, first 2 shown]
	v_add_co_u32_e32 v26, vcc, 0x1000, v4
	s_waitcnt vmcnt(2)
	v_add_f16_e32 v25, v25, v30
	v_addc_co_u32_e32 v27, vcc, 0, v5, vcc
	v_add_co_u32_e32 v28, vcc, 0x2000, v4
	s_waitcnt vmcnt(1)
	v_add_f16_e32 v25, v25, v31
	v_addc_co_u32_e32 v29, vcc, 0, v5, vcc
	global_load_ushort v33, v[26:27], off
	global_load_ushort v34, v[26:27], off offset:1024
	global_load_ushort v35, v[26:27], off offset:2048
	;; [unrolled: 1-line block ×3, first 2 shown]
	global_load_ushort v37, v[28:29], off
	global_load_ushort v38, v[28:29], off offset:1024
	global_load_ushort v39, v[28:29], off offset:2048
	;; [unrolled: 1-line block ×3, first 2 shown]
	v_add_co_u32_e32 v26, vcc, 0x3000, v4
	s_waitcnt vmcnt(8)
	v_add_f16_e32 v25, v25, v32
	v_addc_co_u32_e32 v27, vcc, 0, v5, vcc
	global_load_ushort v28, v[26:27], off
	global_load_ushort v29, v[26:27], off offset:1024
	global_load_ushort v41, v[26:27], off offset:2048
	;; [unrolled: 1-line block ×3, first 2 shown]
	v_lshlrev_b32_e32 v26, 2, v2
	v_cmp_eq_u32_e32 vcc, 0, v2
	s_barrier
	s_waitcnt vmcnt(11)
	v_add_f16_e32 v25, v25, v33
	s_waitcnt vmcnt(10)
	v_add_f16_e32 v25, v25, v34
	;; [unrolled: 2-line block ×12, first 2 shown]
	s_nop 1
	v_mov_b32_dpp v27, v25 quad_perm:[1,0,3,2] row_mask:0xf bank_mask:0xf
	v_add_f16_e32 v25, v25, v27
	s_nop 1
	v_mov_b32_dpp v27, v25 quad_perm:[2,3,0,1] row_mask:0xf bank_mask:0xf
	v_add_f16_e32 v25, v25, v27
	s_nop 1
	v_mov_b32_dpp v27, v25 row_ror:4 row_mask:0xf bank_mask:0xf
	v_add_f16_e32 v25, v25, v27
	s_nop 1
	v_mov_b32_dpp v27, v25 row_ror:8 row_mask:0xf bank_mask:0xf
	v_add_f16_e32 v25, v25, v27
	s_nop 1
	v_mov_b32_dpp v27, v25 row_bcast:15 row_mask:0xf bank_mask:0xf
	v_add_f16_e32 v25, v25, v27
	s_nop 1
	v_mov_b32_dpp v27, v25 row_bcast:31 row_mask:0xf bank_mask:0xf
	v_add_f16_e32 v25, v25, v27
	v_or_b32_e32 v27, 0xfc, v26
	ds_bpermute_b32 v25, v27, v25
	s_and_saveexec_b64 s[10:11], vcc
	s_cbranch_execz .LBB99_47
; %bb.46:                               ;   in Loop: Header=BB99_6 Depth=1
	s_waitcnt lgkmcnt(0)
	ds_write_b16 v24, v25
.LBB99_47:                              ;   in Loop: Header=BB99_6 Depth=1
	s_or_b64 exec, exec, s[10:11]
	s_waitcnt lgkmcnt(0)
	s_barrier
	s_and_saveexec_b64 s[10:11], s[0:1]
	s_cbranch_execz .LBB99_49
; %bb.48:                               ;   in Loop: Header=BB99_6 Depth=1
	v_and_b32_e32 v25, 7, v2
	v_lshlrev_b32_e32 v27, 1, v25
	ds_read_u16 v27, v27
	v_cmp_ne_u32_e32 vcc, 7, v25
	v_or_b32_e32 v26, 16, v26
	s_waitcnt lgkmcnt(0)
	v_and_b32_e32 v29, 0xffff, v27
	v_addc_co_u32_e32 v28, vcc, 0, v2, vcc
	v_lshlrev_b32_e32 v28, 2, v28
	ds_bpermute_b32 v28, v28, v29
	v_cmp_gt_u32_e32 vcc, 6, v25
	s_waitcnt lgkmcnt(0)
	v_add_f16_e32 v27, v27, v28
	v_cndmask_b32_e64 v25, 0, 2, vcc
	v_add_lshl_u32 v25, v25, v2, 2
	ds_bpermute_b32 v25, v25, v27
	s_waitcnt lgkmcnt(0)
	v_add_f16_e32 v25, v27, v25
	ds_bpermute_b32 v26, v26, v25
	s_waitcnt lgkmcnt(0)
	v_add_f16_e32 v25, v25, v26
.LBB99_49:                              ;   in Loop: Header=BB99_6 Depth=1
	s_or_b64 exec, exec, s[10:11]
.LBB99_50:                              ;   in Loop: Header=BB99_6 Depth=1
	v_cmp_lt_i64_e32 vcc, s[8:9], v[8:9]
	s_mov_b64 s[10:11], -1
	s_mov_b64 s[12:13], -1
	s_cbranch_vccnz .LBB99_5
; %bb.51:                               ;   in Loop: Header=BB99_6 Depth=1
	s_add_u32 s8, s8, 0xffffe000
	s_addc_u32 s9, s9, -1
	s_add_i32 s14, s14, -1
	s_cmp_eq_u32 s14, 0
	v_add_f16_e32 v3, v3, v25
	v_lshl_add_u64 v[4:5], v[4:5], 0, s[4:5]
	s_mov_b64 s[10:11], 0
	s_cselect_b64 s[12:13], -1, 0
	s_barrier
	s_branch .LBB99_5
.LBB99_52:
	s_xor_b64 s[0:1], s[10:11], -1
.LBB99_53:
	s_and_b64 vcc, exec, s[0:1]
	s_cbranch_vccz .LBB99_56
; %bb.54:
	v_cmp_eq_u32_e32 vcc, 0, v0
	s_and_saveexec_b64 s[0:1], vcc
	s_cbranch_execz .LBB99_56
; %bb.55:
	s_lshl_b64 s[0:1], s[2:3], 1
	s_waitcnt lgkmcnt(0)
	s_add_u32 s0, s6, s0
	s_addc_u32 s1, s7, s1
	v_mov_b32_e32 v0, 0
	global_store_short v0, v3, s[0:1]
.LBB99_56:
	s_endpgm
	.section	.rodata,"a",@progbits
	.p2align	6, 0x0
	.amdhsa_kernel _ZN2at4cuda3cub15calc_block_sumsILi512ELi16ELb0EN3c104HalfES4_EEvPKT2_PT3_li
		.amdhsa_group_segment_fixed_size 16
		.amdhsa_private_segment_fixed_size 0
		.amdhsa_kernarg_size 28
		.amdhsa_user_sgpr_count 2
		.amdhsa_user_sgpr_dispatch_ptr 0
		.amdhsa_user_sgpr_queue_ptr 0
		.amdhsa_user_sgpr_kernarg_segment_ptr 1
		.amdhsa_user_sgpr_dispatch_id 0
		.amdhsa_user_sgpr_kernarg_preload_length 0
		.amdhsa_user_sgpr_kernarg_preload_offset 0
		.amdhsa_user_sgpr_private_segment_size 0
		.amdhsa_uses_dynamic_stack 0
		.amdhsa_enable_private_segment 0
		.amdhsa_system_sgpr_workgroup_id_x 1
		.amdhsa_system_sgpr_workgroup_id_y 0
		.amdhsa_system_sgpr_workgroup_id_z 0
		.amdhsa_system_sgpr_workgroup_info 0
		.amdhsa_system_vgpr_workitem_id 0
		.amdhsa_next_free_vgpr 44
		.amdhsa_next_free_sgpr 15
		.amdhsa_accum_offset 44
		.amdhsa_reserve_vcc 1
		.amdhsa_float_round_mode_32 0
		.amdhsa_float_round_mode_16_64 0
		.amdhsa_float_denorm_mode_32 3
		.amdhsa_float_denorm_mode_16_64 3
		.amdhsa_dx10_clamp 1
		.amdhsa_ieee_mode 1
		.amdhsa_fp16_overflow 0
		.amdhsa_tg_split 0
		.amdhsa_exception_fp_ieee_invalid_op 0
		.amdhsa_exception_fp_denorm_src 0
		.amdhsa_exception_fp_ieee_div_zero 0
		.amdhsa_exception_fp_ieee_overflow 0
		.amdhsa_exception_fp_ieee_underflow 0
		.amdhsa_exception_fp_ieee_inexact 0
		.amdhsa_exception_int_div_zero 0
	.end_amdhsa_kernel
	.section	.text._ZN2at4cuda3cub15calc_block_sumsILi512ELi16ELb0EN3c104HalfES4_EEvPKT2_PT3_li,"axG",@progbits,_ZN2at4cuda3cub15calc_block_sumsILi512ELi16ELb0EN3c104HalfES4_EEvPKT2_PT3_li,comdat
.Lfunc_end99:
	.size	_ZN2at4cuda3cub15calc_block_sumsILi512ELi16ELb0EN3c104HalfES4_EEvPKT2_PT3_li, .Lfunc_end99-_ZN2at4cuda3cub15calc_block_sumsILi512ELi16ELb0EN3c104HalfES4_EEvPKT2_PT3_li
                                        ; -- End function
	.set _ZN2at4cuda3cub15calc_block_sumsILi512ELi16ELb0EN3c104HalfES4_EEvPKT2_PT3_li.num_vgpr, 44
	.set _ZN2at4cuda3cub15calc_block_sumsILi512ELi16ELb0EN3c104HalfES4_EEvPKT2_PT3_li.num_agpr, 0
	.set _ZN2at4cuda3cub15calc_block_sumsILi512ELi16ELb0EN3c104HalfES4_EEvPKT2_PT3_li.numbered_sgpr, 15
	.set _ZN2at4cuda3cub15calc_block_sumsILi512ELi16ELb0EN3c104HalfES4_EEvPKT2_PT3_li.num_named_barrier, 0
	.set _ZN2at4cuda3cub15calc_block_sumsILi512ELi16ELb0EN3c104HalfES4_EEvPKT2_PT3_li.private_seg_size, 0
	.set _ZN2at4cuda3cub15calc_block_sumsILi512ELi16ELb0EN3c104HalfES4_EEvPKT2_PT3_li.uses_vcc, 1
	.set _ZN2at4cuda3cub15calc_block_sumsILi512ELi16ELb0EN3c104HalfES4_EEvPKT2_PT3_li.uses_flat_scratch, 0
	.set _ZN2at4cuda3cub15calc_block_sumsILi512ELi16ELb0EN3c104HalfES4_EEvPKT2_PT3_li.has_dyn_sized_stack, 0
	.set _ZN2at4cuda3cub15calc_block_sumsILi512ELi16ELb0EN3c104HalfES4_EEvPKT2_PT3_li.has_recursion, 0
	.set _ZN2at4cuda3cub15calc_block_sumsILi512ELi16ELb0EN3c104HalfES4_EEvPKT2_PT3_li.has_indirect_call, 0
	.section	.AMDGPU.csdata,"",@progbits
; Kernel info:
; codeLenInByte = 2024
; TotalNumSgprs: 21
; NumVgprs: 44
; NumAgprs: 0
; TotalNumVgprs: 44
; ScratchSize: 0
; MemoryBound: 0
; FloatMode: 240
; IeeeMode: 1
; LDSByteSize: 16 bytes/workgroup (compile time only)
; SGPRBlocks: 2
; VGPRBlocks: 5
; NumSGPRsForWavesPerEU: 21
; NumVGPRsForWavesPerEU: 44
; AccumOffset: 44
; Occupancy: 8
; WaveLimiterHint : 1
; COMPUTE_PGM_RSRC2:SCRATCH_EN: 0
; COMPUTE_PGM_RSRC2:USER_SGPR: 2
; COMPUTE_PGM_RSRC2:TRAP_HANDLER: 0
; COMPUTE_PGM_RSRC2:TGID_X_EN: 1
; COMPUTE_PGM_RSRC2:TGID_Y_EN: 0
; COMPUTE_PGM_RSRC2:TGID_Z_EN: 0
; COMPUTE_PGM_RSRC2:TIDIG_COMP_CNT: 0
; COMPUTE_PGM_RSRC3_GFX90A:ACCUM_OFFSET: 10
; COMPUTE_PGM_RSRC3_GFX90A:TG_SPLIT: 0
	.section	.text._ZN2at4cuda3cub17final_scan_kernelILi512ELi16EN3c104HalfEEEvPKT1_PS5_S8_li,"axG",@progbits,_ZN2at4cuda3cub17final_scan_kernelILi512ELi16EN3c104HalfEEEvPKT1_PS5_S8_li,comdat
	.protected	_ZN2at4cuda3cub17final_scan_kernelILi512ELi16EN3c104HalfEEEvPKT1_PS5_S8_li ; -- Begin function _ZN2at4cuda3cub17final_scan_kernelILi512ELi16EN3c104HalfEEEvPKT1_PS5_S8_li
	.globl	_ZN2at4cuda3cub17final_scan_kernelILi512ELi16EN3c104HalfEEEvPKT1_PS5_S8_li
	.p2align	8
	.type	_ZN2at4cuda3cub17final_scan_kernelILi512ELi16EN3c104HalfEEEvPKT1_PS5_S8_li,@function
_ZN2at4cuda3cub17final_scan_kernelILi512ELi16EN3c104HalfEEEvPKT1_PS5_S8_li: ; @_ZN2at4cuda3cub17final_scan_kernelILi512ELi16EN3c104HalfEEEvPKT1_PS5_S8_li
; %bb.0:
	s_load_dword s33, s[0:1], 0x20
	s_load_dwordx8 s[36:43], s[0:1], 0x0
	s_waitcnt lgkmcnt(0)
	s_lshl_b32 s3, s33, 13
	s_ashr_i32 s4, s3, 31
	s_mul_hi_u32 s5, s3, s2
	s_mul_i32 s4, s4, s2
	s_add_i32 s31, s5, s4
	s_mul_i32 s30, s3, s2
	s_sub_u32 s44, s42, s30
	s_subb_u32 s45, s43, s31
	v_cmp_lt_i64_e64 s[4:5], s[44:45], 1
	s_and_b64 vcc, exec, s[4:5]
	s_cbranch_vccnz .LBB100_98
; %bb.1:
	v_cmp_gt_u32_e32 vcc, s2, v0
	v_mov_b32_e32 v4, 0
	v_lshlrev_b32_e32 v16, 1, v0
	s_and_saveexec_b64 s[4:5], vcc
	s_cbranch_execz .LBB100_3
; %bb.2:
	global_load_ushort v4, v16, s[40:41]
.LBB100_3:
	s_or_b64 exec, exec, s[4:5]
	s_load_dword s0, s[0:1], 0x34
	s_waitcnt lgkmcnt(0)
	s_and_b32 s3, s0, 0xffff
	v_add_u32_e32 v2, s3, v0
	v_cmp_gt_u32_e32 vcc, s2, v2
	s_and_saveexec_b64 s[0:1], vcc
	s_cbranch_execz .LBB100_7
; %bb.4:
	s_mov_b64 s[4:5], 0
	v_mov_b32_e32 v3, 0
.LBB100_5:                              ; =>This Inner Loop Header: Depth=1
	v_lshl_add_u64 v[6:7], v[2:3], 1, s[40:41]
	global_load_ushort v1, v[6:7], off
	v_add_u32_e32 v2, s3, v2
	v_cmp_le_u32_e32 vcc, s2, v2
	s_or_b64 s[4:5], vcc, s[4:5]
	s_waitcnt vmcnt(0)
	v_add_f16_e32 v4, v1, v4
	s_andn2_b64 exec, exec, s[4:5]
	s_cbranch_execnz .LBB100_5
; %bb.6:
	s_or_b64 exec, exec, s[4:5]
.LBB100_7:
	s_or_b64 exec, exec, s[0:1]
	s_waitcnt vmcnt(0)
	v_and_b32_e32 v2, 0xffff, v4
	v_mbcnt_lo_u32_b32 v1, -1, 0
	v_mbcnt_hi_u32_b32 v1, -1, v1
	v_mov_b32_dpp v2, v2 quad_perm:[1,0,3,2] row_mask:0xf bank_mask:0xf
	v_add_f16_e32 v2, v4, v2
	v_cmp_eq_u32_e64 s[0:1], 0, v1
	s_nop 0
	v_mov_b32_dpp v3, v2 quad_perm:[2,3,0,1] row_mask:0xf bank_mask:0xf
	v_add_f16_e32 v2, v2, v3
	s_nop 1
	v_mov_b32_dpp v3, v2 row_ror:4 row_mask:0xf bank_mask:0xf
	v_add_f16_e32 v2, v2, v3
	s_nop 1
	v_mov_b32_dpp v3, v2 row_ror:8 row_mask:0xf bank_mask:0xf
	v_add_f16_e32 v2, v2, v3
	s_nop 1
	v_mov_b32_dpp v3, v2 row_bcast:15 row_mask:0xf bank_mask:0xf
	v_add_f16_e32 v2, v2, v3
	s_nop 1
	v_mov_b32_dpp v3, v2 row_bcast:31 row_mask:0xf bank_mask:0xf
	v_add_f16_e32 v2, v2, v3
	v_lshlrev_b32_e32 v3, 2, v1
	v_or_b32_e32 v4, 0xfc, v3
	ds_bpermute_b32 v17, v4, v2
	s_and_saveexec_b64 s[4:5], s[0:1]
	s_cbranch_execz .LBB100_9
; %bb.8:
	v_lshrrev_b32_e32 v2, 5, v0
	v_and_b32_e32 v2, 30, v2
	s_waitcnt lgkmcnt(0)
	ds_write_b16 v2, v17
.LBB100_9:
	s_or_b64 exec, exec, s[4:5]
	v_cmp_lt_u32_e64 s[34:35], 63, v0
	v_cmp_gt_u32_e64 s[4:5], 64, v0
	v_and_b32_e32 v2, 7, v1
	s_waitcnt lgkmcnt(0)
	s_barrier
	s_and_saveexec_b64 s[6:7], s[4:5]
	s_cbranch_execz .LBB100_11
; %bb.10:
	v_lshlrev_b32_e32 v4, 1, v2
	ds_read_u16 v4, v4
	v_cmp_ne_u32_e32 vcc, 7, v2
	v_or_b32_e32 v3, 16, v3
	s_waitcnt lgkmcnt(0)
	v_and_b32_e32 v6, 0xffff, v4
	v_addc_co_u32_e32 v5, vcc, 0, v1, vcc
	v_lshlrev_b32_e32 v5, 2, v5
	ds_bpermute_b32 v5, v5, v6
	v_cmp_gt_u32_e32 vcc, 6, v2
	s_waitcnt lgkmcnt(0)
	v_add_f16_e32 v4, v4, v5
	v_cndmask_b32_e64 v6, 0, 2, vcc
	v_add_lshl_u32 v6, v6, v1, 2
	ds_bpermute_b32 v5, v6, v4
	s_waitcnt lgkmcnt(0)
	v_add_f16_e32 v4, v4, v5
	ds_bpermute_b32 v3, v3, v4
	s_waitcnt lgkmcnt(0)
	v_add_f16_e32 v17, v4, v3
.LBB100_11:
	s_or_b64 exec, exec, s[6:7]
	s_cmp_lt_i32 s33, 1
	s_barrier
	s_cbranch_scc1 .LBB100_98
; %bb.12:
	v_lshlrev_b32_e32 v3, 4, v0
	s_movk_i32 s3, 0x3c00
	v_and_or_b32 v18, v3, s3, v1
	v_lshrrev_b32_e32 v3, 4, v18
	v_add_u32_e32 v19, 64, v18
	v_and_b32_e32 v3, 0x3c4, v3
	v_lshlrev_b32_e32 v4, 1, v18
	v_add_u32_e32 v34, v3, v4
	v_lshrrev_b32_e32 v3, 4, v19
	v_or_b32_e32 v20, 0x80, v18
	v_and_b32_e32 v3, 0x3cc, v3
	v_add_u32_e32 v35, v3, v4
	v_lshrrev_b32_e32 v3, 4, v20
	v_add_u32_e32 v21, 0xc0, v18
	v_and_b32_e32 v3, 0x3cc, v3
	v_add_u32_e32 v36, v3, v4
	v_lshrrev_b32_e32 v3, 4, v21
	v_or_b32_e32 v22, 0x100, v18
	v_and_b32_e32 v3, 0x3dc, v3
	v_add_u32_e32 v37, v3, v4
	v_lshrrev_b32_e32 v3, 4, v22
	v_add_u32_e32 v23, 0x140, v18
	v_and_b32_e32 v3, 0x3d4, v3
	;; [unrolled: 8-line block ×7, first 2 shown]
	v_add_u32_e32 v48, v3, v4
	v_lshrrev_b32_e32 v3, 4, v33
	v_and_b32_e32 v3, 0x7fc, v3
	v_add_u32_e32 v49, v3, v4
	v_and_b32_e32 v3, 0x3c0, v0
	v_add_u16_e32 v5, v1, v3
	v_add_lshl_u32 v4, v1, v3, 4
	v_lshrrev_b16_e32 v5, 1, v5
	v_min_u32_e32 v3, 0x1c0, v3
	v_and_b32_e32 v5, 0x3fe, v5
	v_or_b32_e32 v3, 63, v3
	v_add_lshl_u32 v50, v5, v4, 1
	v_and_b32_e32 v4, 15, v1
	v_cmp_eq_u32_e64 s[18:19], v0, v3
	v_cmp_eq_u32_e64 s[22:23], 0, v2
	v_cmp_lt_u32_e64 s[24:25], 1, v2
	v_cmp_lt_u32_e64 s[26:27], 3, v2
	v_add_u32_e32 v2, -1, v1
	v_and_b32_e32 v3, 64, v1
	v_cmp_eq_u32_e64 s[6:7], 0, v4
	v_cmp_lt_u32_e64 s[8:9], 1, v4
	v_cmp_lt_u32_e64 s[10:11], 3, v4
	;; [unrolled: 1-line block ×3, first 2 shown]
	v_and_b32_e32 v4, 16, v1
	v_cmp_lt_i32_e32 vcc, v2, v3
	v_cmp_eq_u32_e64 s[14:15], 0, v4
	v_cmp_lt_u32_e64 s[16:17], 31, v1
	v_lshrrev_b32_e32 v4, 6, v0
	v_cmp_gt_u32_e64 s[20:21], 8, v0
	v_cndmask_b32_e32 v2, v2, v1, vcc
	v_cmp_eq_u32_e64 s[28:29], 0, v0
	v_lshlrev_b32_e32 v0, 1, v1
	v_mov_b32_e32 v1, 0
	v_lshlrev_b32_e32 v52, 2, v2
	v_lshlrev_b32_e32 v2, 11, v4
	v_mov_b32_e32 v3, v1
	s_mul_i32 s2, s2, s33
	v_lshlrev_b32_e32 v51, 1, v4
	v_lshl_add_u64 v[4:5], s[30:31], 1, v[2:3]
	s_lshl_b32 s2, s2, 13
	v_lshl_add_u64 v[2:3], s[36:37], 0, v[4:5]
	s_sub_i32 s40, s42, s2
	v_lshl_add_u64 v[4:5], s[38:39], 0, v[4:5]
	s_mov_b32 s38, 0x5040100
	s_mov_b64 s[2:3], 0x4000
	v_mov_b64_e32 v[6:7], 0x2001
	s_branch .LBB100_14
.LBB100_13:                             ;   in Loop: Header=BB100_14 Depth=1
	s_andn2_b64 vcc, exec, s[30:31]
	s_cbranch_vccz .LBB100_98
.LBB100_14:                             ; =>This Inner Loop Header: Depth=1
	v_mov_b64_e32 v[8:9], 0x1fff
	v_cmp_gt_i64_e32 vcc, s[44:45], v[8:9]
	s_mov_b64 s[36:37], -1
	v_cmp_gt_u32_e64 s[30:31], s40, v18
	s_cbranch_vccnz .LBB100_48
; %bb.15:                               ;   in Loop: Header=BB100_14 Depth=1
	v_lshl_add_u64 v[8:9], v[2:3], 0, v[0:1]
	v_mov_b32_e32 v10, 0
	v_mov_b32_e32 v11, 0
	s_and_saveexec_b64 s[36:37], s[30:31]
	s_cbranch_execz .LBB100_17
; %bb.16:                               ;   in Loop: Header=BB100_14 Depth=1
	global_load_ushort v11, v[8:9], off
.LBB100_17:                             ;   in Loop: Header=BB100_14 Depth=1
	s_or_b64 exec, exec, s[36:37]
	v_cmp_gt_u32_e32 vcc, s40, v19
	s_and_saveexec_b64 s[30:31], vcc
	s_cbranch_execz .LBB100_19
; %bb.18:                               ;   in Loop: Header=BB100_14 Depth=1
	global_load_ushort v10, v[8:9], off offset:128
.LBB100_19:                             ;   in Loop: Header=BB100_14 Depth=1
	s_or_b64 exec, exec, s[30:31]
	v_cmp_gt_u32_e32 vcc, s40, v20
	v_mov_b32_e32 v12, 0
	v_mov_b32_e32 v13, 0
	s_and_saveexec_b64 s[30:31], vcc
	s_cbranch_execz .LBB100_21
; %bb.20:                               ;   in Loop: Header=BB100_14 Depth=1
	global_load_ushort v13, v[8:9], off offset:256
.LBB100_21:                             ;   in Loop: Header=BB100_14 Depth=1
	s_or_b64 exec, exec, s[30:31]
	v_cmp_gt_u32_e32 vcc, s40, v21
	s_and_saveexec_b64 s[30:31], vcc
	s_cbranch_execz .LBB100_23
; %bb.22:                               ;   in Loop: Header=BB100_14 Depth=1
	global_load_ushort v12, v[8:9], off offset:384
.LBB100_23:                             ;   in Loop: Header=BB100_14 Depth=1
	s_or_b64 exec, exec, s[30:31]
	v_cmp_gt_u32_e32 vcc, s40, v22
	v_mov_b32_e32 v14, 0
	v_mov_b32_e32 v15, 0
	s_and_saveexec_b64 s[30:31], vcc
	s_cbranch_execz .LBB100_25
; %bb.24:                               ;   in Loop: Header=BB100_14 Depth=1
	global_load_ushort v15, v[8:9], off offset:512
.LBB100_25:                             ;   in Loop: Header=BB100_14 Depth=1
	;; [unrolled: 16-line block ×3, first 2 shown]
	s_or_b64 exec, exec, s[30:31]
	v_cmp_gt_u32_e32 vcc, s40, v25
	s_and_saveexec_b64 s[30:31], vcc
	s_cbranch_execz .LBB100_31
; %bb.30:                               ;   in Loop: Header=BB100_14 Depth=1
	global_load_ushort v53, v[8:9], off offset:896
.LBB100_31:                             ;   in Loop: Header=BB100_14 Depth=1
	s_or_b64 exec, exec, s[30:31]
	v_cmp_gt_u32_e32 vcc, s40, v26
	s_waitcnt lgkmcnt(0)
	v_mov_b32_e32 v55, 0
	v_mov_b32_e32 v56, 0
	s_and_saveexec_b64 s[30:31], vcc
	s_cbranch_execz .LBB100_33
; %bb.32:                               ;   in Loop: Header=BB100_14 Depth=1
	global_load_ushort v56, v[8:9], off offset:1024
.LBB100_33:                             ;   in Loop: Header=BB100_14 Depth=1
	s_or_b64 exec, exec, s[30:31]
	v_cmp_gt_u32_e32 vcc, s40, v27
	s_and_saveexec_b64 s[30:31], vcc
	s_cbranch_execz .LBB100_35
; %bb.34:                               ;   in Loop: Header=BB100_14 Depth=1
	global_load_ushort v55, v[8:9], off offset:1152
.LBB100_35:                             ;   in Loop: Header=BB100_14 Depth=1
	s_or_b64 exec, exec, s[30:31]
	v_cmp_gt_u32_e32 vcc, s40, v28
	v_mov_b32_e32 v57, 0
	v_mov_b32_e32 v58, 0
	s_and_saveexec_b64 s[30:31], vcc
	s_cbranch_execz .LBB100_37
; %bb.36:                               ;   in Loop: Header=BB100_14 Depth=1
	global_load_ushort v58, v[8:9], off offset:1280
.LBB100_37:                             ;   in Loop: Header=BB100_14 Depth=1
	s_or_b64 exec, exec, s[30:31]
	v_cmp_gt_u32_e32 vcc, s40, v29
	s_and_saveexec_b64 s[30:31], vcc
	s_cbranch_execz .LBB100_39
; %bb.38:                               ;   in Loop: Header=BB100_14 Depth=1
	global_load_ushort v57, v[8:9], off offset:1408
.LBB100_39:                             ;   in Loop: Header=BB100_14 Depth=1
	s_or_b64 exec, exec, s[30:31]
	v_cmp_gt_u32_e32 vcc, s40, v30
	;; [unrolled: 16-line block ×3, first 2 shown]
	v_mov_b32_e32 v61, 0
	v_mov_b32_e32 v62, 0
	s_and_saveexec_b64 s[30:31], vcc
	s_cbranch_execz .LBB100_45
; %bb.44:                               ;   in Loop: Header=BB100_14 Depth=1
	global_load_ushort v62, v[8:9], off offset:1792
.LBB100_45:                             ;   in Loop: Header=BB100_14 Depth=1
	s_or_b64 exec, exec, s[30:31]
	v_cmp_gt_u32_e32 vcc, s40, v33
	s_and_saveexec_b64 s[30:31], vcc
	s_cbranch_execz .LBB100_47
; %bb.46:                               ;   in Loop: Header=BB100_14 Depth=1
	global_load_ushort v61, v[8:9], off offset:1920
.LBB100_47:                             ;   in Loop: Header=BB100_14 Depth=1
	s_or_b64 exec, exec, s[30:31]
	s_mov_b64 s[36:37], 0
	s_waitcnt vmcnt(0)
	ds_write_b16 v34, v11
	ds_write_b16 v35, v10 offset:128
	ds_write_b16 v36, v13 offset:256
	;; [unrolled: 1-line block ×15, first 2 shown]
	; wave barrier
.LBB100_48:                             ;   in Loop: Header=BB100_14 Depth=1
	s_and_b64 vcc, exec, s[36:37]
	s_cbranch_vccz .LBB100_50
; %bb.49:                               ;   in Loop: Header=BB100_14 Depth=1
	v_lshl_add_u64 v[8:9], v[2:3], 0, v[0:1]
	global_load_ushort v10, v[8:9], off
	global_load_ushort v11, v[8:9], off offset:128
	global_load_ushort v12, v[8:9], off offset:256
	;; [unrolled: 1-line block ×7, first 2 shown]
	s_waitcnt lgkmcnt(0)
	global_load_ushort v55, v[8:9], off offset:1024
	global_load_ushort v56, v[8:9], off offset:1152
	;; [unrolled: 1-line block ×7, first 2 shown]
	s_nop 0
	global_load_ushort v8, v[8:9], off offset:1920
	s_waitcnt vmcnt(15)
	ds_write_b16 v34, v10
	s_waitcnt vmcnt(14)
	ds_write_b16 v35, v11 offset:128
	s_waitcnt vmcnt(13)
	ds_write_b16 v36, v12 offset:256
	;; [unrolled: 2-line block ×15, first 2 shown]
	; wave barrier
.LBB100_50:                             ;   in Loop: Header=BB100_14 Depth=1
	ds_read2_b32 v[14:15], v50 offset1:1
	ds_read2_b32 v[12:13], v50 offset0:2 offset1:3
	ds_read2_b32 v[10:11], v50 offset0:4 offset1:5
	;; [unrolled: 1-line block ×3, first 2 shown]
	s_waitcnt lgkmcnt(0)
	v_add_f16_sdwa v53, v14, v14 dst_sel:DWORD dst_unused:UNUSED_PAD src0_sel:DWORD src1_sel:WORD_1
	v_add_f16_e32 v53, v53, v15
	v_add_f16_sdwa v53, v53, v15 dst_sel:DWORD dst_unused:UNUSED_PAD src0_sel:DWORD src1_sel:WORD_1
	v_add_f16_e32 v53, v53, v12
	;; [unrolled: 2-line block ×7, first 2 shown]
	v_add_f16_sdwa v53, v53, v9 dst_sel:DWORD dst_unused:UNUSED_PAD src0_sel:DWORD src1_sel:WORD_1
	s_barrier
	s_nop 0
	v_mov_b32_dpp v54, v53 row_shr:1 row_mask:0xf bank_mask:0xf
	v_add_f16_e32 v54, v53, v54
	v_cndmask_b32_e64 v53, v54, v53, s[6:7]
	v_and_b32_e32 v54, 0xffff, v53
	s_nop 1
	v_mov_b32_dpp v54, v54 row_shr:2 row_mask:0xf bank_mask:0xf
	v_add_f16_e32 v54, v53, v54
	v_cndmask_b32_e64 v53, v53, v54, s[8:9]
	v_and_b32_e32 v54, 0xffff, v53
	;; [unrolled: 5-line block ×4, first 2 shown]
	s_nop 1
	v_mov_b32_dpp v54, v54 row_bcast:15 row_mask:0xf bank_mask:0xf
	v_add_f16_e32 v54, v53, v54
	v_cndmask_b32_e64 v53, v54, v53, s[14:15]
	v_and_b32_e32 v54, 0xffff, v53
	s_nop 1
	v_mov_b32_dpp v54, v54 row_bcast:31 row_mask:0xf bank_mask:0xf
	v_add_f16_e32 v54, v53, v54
	v_cndmask_b32_e64 v53, v53, v54, s[16:17]
	s_and_saveexec_b64 s[30:31], s[18:19]
; %bb.51:                               ;   in Loop: Header=BB100_14 Depth=1
	ds_write_b16 v51, v53
; %bb.52:                               ;   in Loop: Header=BB100_14 Depth=1
	s_or_b64 exec, exec, s[30:31]
	s_waitcnt lgkmcnt(0)
	s_barrier
	s_and_saveexec_b64 s[30:31], s[20:21]
	s_cbranch_execz .LBB100_54
; %bb.53:                               ;   in Loop: Header=BB100_14 Depth=1
	ds_read_u16 v54, v16
	s_waitcnt lgkmcnt(0)
	v_and_b32_e32 v55, 0xffff, v54
	s_nop 1
	v_mov_b32_dpp v55, v55 row_shr:1 row_mask:0xf bank_mask:0xf
	v_add_f16_e32 v55, v54, v55
	v_cndmask_b32_e64 v54, v55, v54, s[22:23]
	v_and_b32_e32 v55, 0xffff, v54
	s_nop 1
	v_mov_b32_dpp v55, v55 row_shr:2 row_mask:0xf bank_mask:0xf
	v_add_f16_e32 v55, v54, v55
	v_cndmask_b32_e64 v54, v54, v55, s[24:25]
	v_and_b32_e32 v55, 0xffff, v54
	s_nop 1
	v_mov_b32_dpp v55, v55 row_shr:4 row_mask:0xf bank_mask:0xf
	v_add_f16_e32 v55, v54, v55
	v_cndmask_b32_e64 v54, v54, v55, s[26:27]
	ds_write_b16 v16, v54
.LBB100_54:                             ;   in Loop: Header=BB100_14 Depth=1
	s_or_b64 exec, exec, s[30:31]
	s_waitcnt lgkmcnt(0)
	s_barrier
                                        ; implicit-def: $vgpr54
	s_and_saveexec_b64 s[30:31], s[34:35]
	s_cbranch_execz .LBB100_56
; %bb.55:                               ;   in Loop: Header=BB100_14 Depth=1
	v_add_u32_e32 v54, -2, v51
	ds_read_u16 v54, v54
	s_waitcnt lgkmcnt(0)
	v_add_f16_e32 v53, v53, v54
.LBB100_56:                             ;   in Loop: Header=BB100_14 Depth=1
	s_or_b64 exec, exec, s[30:31]
	v_and_b32_e32 v53, 0xffff, v53
	ds_bpermute_b32 v53, v52, v53
	s_and_saveexec_b64 s[30:31], s[4:5]
	s_cbranch_execz .LBB100_60
; %bb.57:                               ;   in Loop: Header=BB100_14 Depth=1
	ds_read_u16 v55, v1 offset:14
	s_and_saveexec_b64 s[36:37], s[28:29]
; %bb.58:                               ;   in Loop: Header=BB100_14 Depth=1
	ds_write_b16 v1, v17 offset:14
; %bb.59:                               ;   in Loop: Header=BB100_14 Depth=1
	s_or_b64 exec, exec, s[36:37]
	s_waitcnt lgkmcnt(0)
	v_add_f16_e32 v17, v55, v17
.LBB100_60:                             ;   in Loop: Header=BB100_14 Depth=1
	s_or_b64 exec, exec, s[30:31]
	s_waitcnt lgkmcnt(0)
	s_barrier
	ds_read_u16 v55, v1 offset:14
	v_cndmask_b32_e64 v53, v53, v54, s[0:1]
	v_add_f16_e32 v53, v14, v53
	v_cndmask_b32_e64 v53, v53, v14, s[28:29]
	v_mov_b64_e32 v[56:57], 0x2000
	s_waitcnt lgkmcnt(0)
	v_add_f16_e32 v53, v55, v53
	v_add_f16_sdwa v14, v14, v53 dst_sel:DWORD dst_unused:UNUSED_PAD src0_sel:WORD_1 src1_sel:DWORD
	v_add_f16_e32 v54, v14, v15
	v_add_f16_sdwa v15, v54, v15 dst_sel:DWORD dst_unused:UNUSED_PAD src0_sel:DWORD src1_sel:WORD_1
	v_add_f16_e32 v55, v15, v12
	v_cmp_lt_i64_e32 vcc, s[44:45], v[56:57]
	v_add_f16_sdwa v56, v55, v12 dst_sel:DWORD dst_unused:UNUSED_PAD src0_sel:DWORD src1_sel:WORD_1
	v_add_f16_e32 v12, v56, v13
	v_add_f16_sdwa v13, v12, v13 dst_sel:DWORD dst_unused:UNUSED_PAD src0_sel:DWORD src1_sel:WORD_1
	v_add_f16_e32 v57, v13, v10
	;; [unrolled: 2-line block ×5, first 2 shown]
	v_add_f16_sdwa v9, v62, v9 dst_sel:DWORD dst_unused:UNUSED_PAD src0_sel:DWORD src1_sel:WORD_1
	s_and_b64 vcc, exec, vcc
	v_perm_b32 v10, v15, v54, s38
	v_perm_b32 v11, v14, v53, s38
	;; [unrolled: 1-line block ×8, first 2 shown]
	v_lshl_add_u64 v[8:9], v[4:5], 0, v[0:1]
	s_barrier
	s_cbranch_vccz .LBB100_83
; %bb.61:                               ;   in Loop: Header=BB100_14 Depth=1
	ds_write2_b32 v50, v11, v10 offset1:1
	ds_write2_b32 v50, v13, v12 offset0:2 offset1:3
	ds_write2_b32 v50, v15, v14 offset0:4 offset1:5
	;; [unrolled: 1-line block ×3, first 2 shown]
	; wave barrier
	ds_read_u16 v69, v35 offset:128
	ds_read_u16 v68, v36 offset:256
	;; [unrolled: 1-line block ×15, first 2 shown]
	v_cmp_gt_u32_e32 vcc, s40, v18
	s_and_saveexec_b64 s[30:31], vcc
	s_cbranch_execnz .LBB100_84
; %bb.62:                               ;   in Loop: Header=BB100_14 Depth=1
	s_or_b64 exec, exec, s[30:31]
	v_cmp_gt_u32_e32 vcc, s40, v19
	s_and_saveexec_b64 s[30:31], vcc
	s_cbranch_execnz .LBB100_85
.LBB100_63:                             ;   in Loop: Header=BB100_14 Depth=1
	s_or_b64 exec, exec, s[30:31]
	v_cmp_gt_u32_e32 vcc, s40, v20
	s_and_saveexec_b64 s[30:31], vcc
	s_cbranch_execnz .LBB100_86
.LBB100_64:                             ;   in Loop: Header=BB100_14 Depth=1
	s_or_b64 exec, exec, s[30:31]
	v_cmp_gt_u32_e32 vcc, s40, v21
	s_and_saveexec_b64 s[30:31], vcc
	s_cbranch_execnz .LBB100_87
.LBB100_65:                             ;   in Loop: Header=BB100_14 Depth=1
	s_or_b64 exec, exec, s[30:31]
	v_cmp_gt_u32_e32 vcc, s40, v22
	s_and_saveexec_b64 s[30:31], vcc
	s_cbranch_execnz .LBB100_88
.LBB100_66:                             ;   in Loop: Header=BB100_14 Depth=1
	s_or_b64 exec, exec, s[30:31]
	v_cmp_gt_u32_e32 vcc, s40, v23
	s_and_saveexec_b64 s[30:31], vcc
	s_cbranch_execnz .LBB100_89
.LBB100_67:                             ;   in Loop: Header=BB100_14 Depth=1
	s_or_b64 exec, exec, s[30:31]
	v_cmp_gt_u32_e32 vcc, s40, v24
	s_and_saveexec_b64 s[30:31], vcc
	s_cbranch_execnz .LBB100_90
.LBB100_68:                             ;   in Loop: Header=BB100_14 Depth=1
	s_or_b64 exec, exec, s[30:31]
	v_cmp_gt_u32_e32 vcc, s40, v25
	s_and_saveexec_b64 s[30:31], vcc
	s_cbranch_execnz .LBB100_91
.LBB100_69:                             ;   in Loop: Header=BB100_14 Depth=1
	s_or_b64 exec, exec, s[30:31]
	v_cmp_gt_u32_e32 vcc, s40, v26
	s_and_saveexec_b64 s[30:31], vcc
	s_cbranch_execnz .LBB100_92
.LBB100_70:                             ;   in Loop: Header=BB100_14 Depth=1
	s_or_b64 exec, exec, s[30:31]
	v_cmp_gt_u32_e32 vcc, s40, v27
	s_and_saveexec_b64 s[30:31], vcc
	s_cbranch_execnz .LBB100_93
.LBB100_71:                             ;   in Loop: Header=BB100_14 Depth=1
	s_or_b64 exec, exec, s[30:31]
	v_cmp_gt_u32_e32 vcc, s40, v28
	s_and_saveexec_b64 s[30:31], vcc
	s_cbranch_execnz .LBB100_94
.LBB100_72:                             ;   in Loop: Header=BB100_14 Depth=1
	s_or_b64 exec, exec, s[30:31]
	v_cmp_gt_u32_e32 vcc, s40, v29
	s_and_saveexec_b64 s[30:31], vcc
	s_cbranch_execnz .LBB100_95
.LBB100_73:                             ;   in Loop: Header=BB100_14 Depth=1
	s_or_b64 exec, exec, s[30:31]
	v_cmp_gt_u32_e32 vcc, s40, v30
	s_and_saveexec_b64 s[30:31], vcc
	s_cbranch_execnz .LBB100_96
.LBB100_74:                             ;   in Loop: Header=BB100_14 Depth=1
	s_or_b64 exec, exec, s[30:31]
	v_cmp_gt_u32_e32 vcc, s40, v31
	s_and_saveexec_b64 s[30:31], vcc
	s_cbranch_execnz .LBB100_97
.LBB100_75:                             ;   in Loop: Header=BB100_14 Depth=1
	s_or_b64 exec, exec, s[30:31]
	v_cmp_gt_u32_e32 vcc, s40, v32
	s_and_saveexec_b64 s[30:31], vcc
	s_cbranch_execz .LBB100_77
.LBB100_76:                             ;   in Loop: Header=BB100_14 Depth=1
	s_waitcnt lgkmcnt(1)
	global_store_short v[8:9], v56, off offset:1792
.LBB100_77:                             ;   in Loop: Header=BB100_14 Depth=1
	s_or_b64 exec, exec, s[30:31]
	v_cmp_gt_u32_e64 s[30:31], s40, v33
	s_branch .LBB100_79
.LBB100_78:                             ;   in Loop: Header=BB100_14 Depth=1
	ds_write2_b32 v50, v11, v10 offset1:1
	ds_write2_b32 v50, v13, v12 offset0:2 offset1:3
	ds_write2_b32 v50, v15, v14 offset0:4 offset1:5
	;; [unrolled: 1-line block ×3, first 2 shown]
	; wave barrier
	ds_read_u16 v10, v34
	ds_read_u16 v11, v35 offset:128
	ds_read_u16 v12, v36 offset:256
	;; [unrolled: 1-line block ×7, first 2 shown]
	s_waitcnt lgkmcnt(13)
	ds_read_u16 v56, v42 offset:1024
	ds_read_u16 v57, v43 offset:1152
	;; [unrolled: 1-line block ×7, first 2 shown]
	s_waitcnt lgkmcnt(14)
	ds_read_u16 v55, v49 offset:1920
	s_or_b64 s[30:31], s[30:31], exec
	global_store_short v[8:9], v10, off
	s_waitcnt lgkmcnt(14)
	global_store_short v[8:9], v11, off offset:128
	s_waitcnt lgkmcnt(13)
	global_store_short v[8:9], v12, off offset:256
	;; [unrolled: 2-line block ×14, first 2 shown]
.LBB100_79:                             ;   in Loop: Header=BB100_14 Depth=1
	s_and_saveexec_b64 s[36:37], s[30:31]
	s_cbranch_execz .LBB100_81
; %bb.80:                               ;   in Loop: Header=BB100_14 Depth=1
	s_waitcnt lgkmcnt(0)
	global_store_short v[8:9], v55, off offset:1920
.LBB100_81:                             ;   in Loop: Header=BB100_14 Depth=1
	s_or_b64 exec, exec, s[36:37]
	v_cmp_lt_i64_e32 vcc, s[44:45], v[6:7]
	s_mov_b64 s[30:31], -1
	s_cbranch_vccnz .LBB100_13
; %bb.82:                               ;   in Loop: Header=BB100_14 Depth=1
	s_add_u32 s44, s44, 0xffffe000
	s_addc_u32 s45, s45, -1
	s_add_i32 s33, s33, -1
	s_addk_i32 s40, 0xe000
	s_cmp_eq_u32 s33, 0
	v_lshl_add_u64 v[2:3], v[2:3], 0, s[2:3]
	v_lshl_add_u64 v[4:5], v[4:5], 0, s[2:3]
	s_cselect_b64 s[30:31], -1, 0
	s_waitcnt lgkmcnt(0)
	s_barrier
	s_branch .LBB100_13
.LBB100_83:                             ;   in Loop: Header=BB100_14 Depth=1
	s_mov_b64 s[30:31], 0
                                        ; implicit-def: $vgpr55
	s_cbranch_execnz .LBB100_78
	s_branch .LBB100_79
.LBB100_84:                             ;   in Loop: Header=BB100_14 Depth=1
	ds_read_u16 v70, v34
	s_waitcnt lgkmcnt(0)
	global_store_short v[8:9], v70, off
	s_or_b64 exec, exec, s[30:31]
	v_cmp_gt_u32_e32 vcc, s40, v19
	s_and_saveexec_b64 s[30:31], vcc
	s_cbranch_execz .LBB100_63
.LBB100_85:                             ;   in Loop: Header=BB100_14 Depth=1
	s_waitcnt lgkmcnt(14)
	global_store_short v[8:9], v69, off offset:128
	s_or_b64 exec, exec, s[30:31]
	v_cmp_gt_u32_e32 vcc, s40, v20
	s_and_saveexec_b64 s[30:31], vcc
	s_cbranch_execz .LBB100_64
.LBB100_86:                             ;   in Loop: Header=BB100_14 Depth=1
	s_waitcnt lgkmcnt(13)
	global_store_short v[8:9], v68, off offset:256
	s_or_b64 exec, exec, s[30:31]
	v_cmp_gt_u32_e32 vcc, s40, v21
	s_and_saveexec_b64 s[30:31], vcc
	s_cbranch_execz .LBB100_65
.LBB100_87:                             ;   in Loop: Header=BB100_14 Depth=1
	s_waitcnt lgkmcnt(12)
	global_store_short v[8:9], v67, off offset:384
	s_or_b64 exec, exec, s[30:31]
	v_cmp_gt_u32_e32 vcc, s40, v22
	s_and_saveexec_b64 s[30:31], vcc
	s_cbranch_execz .LBB100_66
.LBB100_88:                             ;   in Loop: Header=BB100_14 Depth=1
	s_waitcnt lgkmcnt(11)
	global_store_short v[8:9], v66, off offset:512
	s_or_b64 exec, exec, s[30:31]
	v_cmp_gt_u32_e32 vcc, s40, v23
	s_and_saveexec_b64 s[30:31], vcc
	s_cbranch_execz .LBB100_67
.LBB100_89:                             ;   in Loop: Header=BB100_14 Depth=1
	s_waitcnt lgkmcnt(10)
	global_store_short v[8:9], v65, off offset:640
	s_or_b64 exec, exec, s[30:31]
	v_cmp_gt_u32_e32 vcc, s40, v24
	s_and_saveexec_b64 s[30:31], vcc
	s_cbranch_execz .LBB100_68
.LBB100_90:                             ;   in Loop: Header=BB100_14 Depth=1
	s_waitcnt lgkmcnt(9)
	global_store_short v[8:9], v64, off offset:768
	s_or_b64 exec, exec, s[30:31]
	v_cmp_gt_u32_e32 vcc, s40, v25
	s_and_saveexec_b64 s[30:31], vcc
	s_cbranch_execz .LBB100_69
.LBB100_91:                             ;   in Loop: Header=BB100_14 Depth=1
	s_waitcnt lgkmcnt(8)
	global_store_short v[8:9], v63, off offset:896
	s_or_b64 exec, exec, s[30:31]
	v_cmp_gt_u32_e32 vcc, s40, v26
	s_and_saveexec_b64 s[30:31], vcc
	s_cbranch_execz .LBB100_70
.LBB100_92:                             ;   in Loop: Header=BB100_14 Depth=1
	s_waitcnt lgkmcnt(7)
	global_store_short v[8:9], v62, off offset:1024
	s_or_b64 exec, exec, s[30:31]
	v_cmp_gt_u32_e32 vcc, s40, v27
	s_and_saveexec_b64 s[30:31], vcc
	s_cbranch_execz .LBB100_71
.LBB100_93:                             ;   in Loop: Header=BB100_14 Depth=1
	s_waitcnt lgkmcnt(6)
	global_store_short v[8:9], v61, off offset:1152
	s_or_b64 exec, exec, s[30:31]
	v_cmp_gt_u32_e32 vcc, s40, v28
	s_and_saveexec_b64 s[30:31], vcc
	s_cbranch_execz .LBB100_72
.LBB100_94:                             ;   in Loop: Header=BB100_14 Depth=1
	s_waitcnt lgkmcnt(5)
	global_store_short v[8:9], v60, off offset:1280
	s_or_b64 exec, exec, s[30:31]
	v_cmp_gt_u32_e32 vcc, s40, v29
	s_and_saveexec_b64 s[30:31], vcc
	s_cbranch_execz .LBB100_73
.LBB100_95:                             ;   in Loop: Header=BB100_14 Depth=1
	s_waitcnt lgkmcnt(4)
	global_store_short v[8:9], v59, off offset:1408
	s_or_b64 exec, exec, s[30:31]
	v_cmp_gt_u32_e32 vcc, s40, v30
	s_and_saveexec_b64 s[30:31], vcc
	s_cbranch_execz .LBB100_74
.LBB100_96:                             ;   in Loop: Header=BB100_14 Depth=1
	s_waitcnt lgkmcnt(3)
	global_store_short v[8:9], v58, off offset:1536
	s_or_b64 exec, exec, s[30:31]
	v_cmp_gt_u32_e32 vcc, s40, v31
	s_and_saveexec_b64 s[30:31], vcc
	s_cbranch_execz .LBB100_75
.LBB100_97:                             ;   in Loop: Header=BB100_14 Depth=1
	s_waitcnt lgkmcnt(2)
	global_store_short v[8:9], v57, off offset:1664
	s_or_b64 exec, exec, s[30:31]
	v_cmp_gt_u32_e32 vcc, s40, v32
	s_and_saveexec_b64 s[30:31], vcc
	s_cbranch_execnz .LBB100_76
	s_branch .LBB100_77
.LBB100_98:
	s_endpgm
	.section	.rodata,"a",@progbits
	.p2align	6, 0x0
	.amdhsa_kernel _ZN2at4cuda3cub17final_scan_kernelILi512ELi16EN3c104HalfEEEvPKT1_PS5_S8_li
		.amdhsa_group_segment_fixed_size 16896
		.amdhsa_private_segment_fixed_size 0
		.amdhsa_kernarg_size 296
		.amdhsa_user_sgpr_count 2
		.amdhsa_user_sgpr_dispatch_ptr 0
		.amdhsa_user_sgpr_queue_ptr 0
		.amdhsa_user_sgpr_kernarg_segment_ptr 1
		.amdhsa_user_sgpr_dispatch_id 0
		.amdhsa_user_sgpr_kernarg_preload_length 0
		.amdhsa_user_sgpr_kernarg_preload_offset 0
		.amdhsa_user_sgpr_private_segment_size 0
		.amdhsa_uses_dynamic_stack 0
		.amdhsa_enable_private_segment 0
		.amdhsa_system_sgpr_workgroup_id_x 1
		.amdhsa_system_sgpr_workgroup_id_y 0
		.amdhsa_system_sgpr_workgroup_id_z 0
		.amdhsa_system_sgpr_workgroup_info 0
		.amdhsa_system_vgpr_workitem_id 0
		.amdhsa_next_free_vgpr 71
		.amdhsa_next_free_sgpr 46
		.amdhsa_accum_offset 72
		.amdhsa_reserve_vcc 1
		.amdhsa_float_round_mode_32 0
		.amdhsa_float_round_mode_16_64 0
		.amdhsa_float_denorm_mode_32 3
		.amdhsa_float_denorm_mode_16_64 3
		.amdhsa_dx10_clamp 1
		.amdhsa_ieee_mode 1
		.amdhsa_fp16_overflow 0
		.amdhsa_tg_split 0
		.amdhsa_exception_fp_ieee_invalid_op 0
		.amdhsa_exception_fp_denorm_src 0
		.amdhsa_exception_fp_ieee_div_zero 0
		.amdhsa_exception_fp_ieee_overflow 0
		.amdhsa_exception_fp_ieee_underflow 0
		.amdhsa_exception_fp_ieee_inexact 0
		.amdhsa_exception_int_div_zero 0
	.end_amdhsa_kernel
	.section	.text._ZN2at4cuda3cub17final_scan_kernelILi512ELi16EN3c104HalfEEEvPKT1_PS5_S8_li,"axG",@progbits,_ZN2at4cuda3cub17final_scan_kernelILi512ELi16EN3c104HalfEEEvPKT1_PS5_S8_li,comdat
.Lfunc_end100:
	.size	_ZN2at4cuda3cub17final_scan_kernelILi512ELi16EN3c104HalfEEEvPKT1_PS5_S8_li, .Lfunc_end100-_ZN2at4cuda3cub17final_scan_kernelILi512ELi16EN3c104HalfEEEvPKT1_PS5_S8_li
                                        ; -- End function
	.set _ZN2at4cuda3cub17final_scan_kernelILi512ELi16EN3c104HalfEEEvPKT1_PS5_S8_li.num_vgpr, 71
	.set _ZN2at4cuda3cub17final_scan_kernelILi512ELi16EN3c104HalfEEEvPKT1_PS5_S8_li.num_agpr, 0
	.set _ZN2at4cuda3cub17final_scan_kernelILi512ELi16EN3c104HalfEEEvPKT1_PS5_S8_li.numbered_sgpr, 46
	.set _ZN2at4cuda3cub17final_scan_kernelILi512ELi16EN3c104HalfEEEvPKT1_PS5_S8_li.num_named_barrier, 0
	.set _ZN2at4cuda3cub17final_scan_kernelILi512ELi16EN3c104HalfEEEvPKT1_PS5_S8_li.private_seg_size, 0
	.set _ZN2at4cuda3cub17final_scan_kernelILi512ELi16EN3c104HalfEEEvPKT1_PS5_S8_li.uses_vcc, 1
	.set _ZN2at4cuda3cub17final_scan_kernelILi512ELi16EN3c104HalfEEEvPKT1_PS5_S8_li.uses_flat_scratch, 0
	.set _ZN2at4cuda3cub17final_scan_kernelILi512ELi16EN3c104HalfEEEvPKT1_PS5_S8_li.has_dyn_sized_stack, 0
	.set _ZN2at4cuda3cub17final_scan_kernelILi512ELi16EN3c104HalfEEEvPKT1_PS5_S8_li.has_recursion, 0
	.set _ZN2at4cuda3cub17final_scan_kernelILi512ELi16EN3c104HalfEEEvPKT1_PS5_S8_li.has_indirect_call, 0
	.section	.AMDGPU.csdata,"",@progbits
; Kernel info:
; codeLenInByte = 4240
; TotalNumSgprs: 52
; NumVgprs: 71
; NumAgprs: 0
; TotalNumVgprs: 71
; ScratchSize: 0
; MemoryBound: 0
; FloatMode: 240
; IeeeMode: 1
; LDSByteSize: 16896 bytes/workgroup (compile time only)
; SGPRBlocks: 6
; VGPRBlocks: 8
; NumSGPRsForWavesPerEU: 52
; NumVGPRsForWavesPerEU: 71
; AccumOffset: 72
; Occupancy: 7
; WaveLimiterHint : 1
; COMPUTE_PGM_RSRC2:SCRATCH_EN: 0
; COMPUTE_PGM_RSRC2:USER_SGPR: 2
; COMPUTE_PGM_RSRC2:TRAP_HANDLER: 0
; COMPUTE_PGM_RSRC2:TGID_X_EN: 1
; COMPUTE_PGM_RSRC2:TGID_Y_EN: 0
; COMPUTE_PGM_RSRC2:TGID_Z_EN: 0
; COMPUTE_PGM_RSRC2:TIDIG_COMP_CNT: 0
; COMPUTE_PGM_RSRC3_GFX90A:ACCUM_OFFSET: 17
; COMPUTE_PGM_RSRC3_GFX90A:TG_SPLIT: 0
	.section	.text._ZN7rocprim17ROCPRIM_304000_NS6detail31init_lookback_scan_state_kernelINS1_19lookback_scan_stateIN3c104HalfELb1ELb1EEEEEvT_jjPNS7_10value_typeE,"axG",@progbits,_ZN7rocprim17ROCPRIM_304000_NS6detail31init_lookback_scan_state_kernelINS1_19lookback_scan_stateIN3c104HalfELb1ELb1EEEEEvT_jjPNS7_10value_typeE,comdat
	.protected	_ZN7rocprim17ROCPRIM_304000_NS6detail31init_lookback_scan_state_kernelINS1_19lookback_scan_stateIN3c104HalfELb1ELb1EEEEEvT_jjPNS7_10value_typeE ; -- Begin function _ZN7rocprim17ROCPRIM_304000_NS6detail31init_lookback_scan_state_kernelINS1_19lookback_scan_stateIN3c104HalfELb1ELb1EEEEEvT_jjPNS7_10value_typeE
	.globl	_ZN7rocprim17ROCPRIM_304000_NS6detail31init_lookback_scan_state_kernelINS1_19lookback_scan_stateIN3c104HalfELb1ELb1EEEEEvT_jjPNS7_10value_typeE
	.p2align	8
	.type	_ZN7rocprim17ROCPRIM_304000_NS6detail31init_lookback_scan_state_kernelINS1_19lookback_scan_stateIN3c104HalfELb1ELb1EEEEEvT_jjPNS7_10value_typeE,@function
_ZN7rocprim17ROCPRIM_304000_NS6detail31init_lookback_scan_state_kernelINS1_19lookback_scan_stateIN3c104HalfELb1ELb1EEEEEvT_jjPNS7_10value_typeE: ; @_ZN7rocprim17ROCPRIM_304000_NS6detail31init_lookback_scan_state_kernelINS1_19lookback_scan_stateIN3c104HalfELb1ELb1EEEEEvT_jjPNS7_10value_typeE
; %bb.0:
	s_load_dword s3, s[0:1], 0x24
	s_load_dwordx2 s[8:9], s[0:1], 0x10
	s_load_dwordx4 s[4:7], s[0:1], 0x0
	s_waitcnt lgkmcnt(0)
	s_and_b32 s0, s3, 0xffff
	s_mul_i32 s2, s2, s0
	s_cmp_eq_u64 s[8:9], 0
	v_add_u32_e32 v0, s2, v0
	s_cbranch_scc1 .LBB101_9
; %bb.1:
	s_cmp_lt_u32 s7, s6
	s_cselect_b32 s0, s7, 0
	s_mov_b32 s3, 0
	v_cmp_eq_u32_e32 vcc, s0, v0
	s_and_saveexec_b64 s[0:1], vcc
	s_cbranch_execz .LBB101_8
; %bb.2:
	s_add_i32 s2, s7, 64
	s_lshl_b64 s[2:3], s[2:3], 2
	s_add_u32 s2, s4, s2
	s_addc_u32 s3, s5, s3
	v_mov_b32_e32 v1, 0
	global_load_dword v2, v1, s[2:3] sc1
	s_waitcnt vmcnt(0)
	v_and_b32_e32 v3, 0xff0000, v2
	v_cmp_ne_u32_e32 vcc, 0, v3
	s_cbranch_vccnz .LBB101_7
; %bb.3:
	s_mov_b32 s7, 1
.LBB101_4:                              ; =>This Loop Header: Depth=1
                                        ;     Child Loop BB101_5 Depth 2
	s_mov_b32 s10, s7
.LBB101_5:                              ;   Parent Loop BB101_4 Depth=1
                                        ; =>  This Inner Loop Header: Depth=2
	s_add_i32 s10, s10, -1
	s_cmp_eq_u32 s10, 0
	s_sleep 1
	s_cbranch_scc0 .LBB101_5
; %bb.6:                                ;   in Loop: Header=BB101_4 Depth=1
	global_load_dword v2, v1, s[2:3] sc1
	s_cmp_lt_u32 s7, 32
	s_cselect_b64 s[10:11], -1, 0
	s_cmp_lg_u64 s[10:11], 0
	s_addc_u32 s7, s7, 0
	s_waitcnt vmcnt(0)
	v_and_b32_e32 v3, 0xff0000, v2
	v_cmp_ne_u32_e32 vcc, 0, v3
	s_cbranch_vccz .LBB101_4
.LBB101_7:
	v_mov_b32_e32 v1, 0
	global_store_short v1, v2, s[8:9]
.LBB101_8:
	s_or_b64 exec, exec, s[0:1]
.LBB101_9:
	v_cmp_gt_u32_e32 vcc, s6, v0
	s_and_saveexec_b64 s[0:1], vcc
	s_cbranch_execnz .LBB101_12
; %bb.10:
	s_or_b64 exec, exec, s[0:1]
	v_cmp_gt_u32_e32 vcc, 64, v0
	s_and_saveexec_b64 s[0:1], vcc
	s_cbranch_execnz .LBB101_13
.LBB101_11:
	s_endpgm
.LBB101_12:
	v_add_u32_e32 v2, 64, v0
	v_mov_b32_e32 v3, 0
	v_lshl_add_u64 v[4:5], v[2:3], 2, s[4:5]
	global_store_dword v[4:5], v3, off
	s_or_b64 exec, exec, s[0:1]
	v_cmp_gt_u32_e32 vcc, 64, v0
	s_and_saveexec_b64 s[0:1], vcc
	s_cbranch_execz .LBB101_11
.LBB101_13:
	v_mov_b32_e32 v1, 0
	v_lshl_add_u64 v[0:1], v[0:1], 2, s[4:5]
	v_mov_b32_e32 v2, 0xff0000
	global_store_dword v[0:1], v2, off
	s_endpgm
	.section	.rodata,"a",@progbits
	.p2align	6, 0x0
	.amdhsa_kernel _ZN7rocprim17ROCPRIM_304000_NS6detail31init_lookback_scan_state_kernelINS1_19lookback_scan_stateIN3c104HalfELb1ELb1EEEEEvT_jjPNS7_10value_typeE
		.amdhsa_group_segment_fixed_size 0
		.amdhsa_private_segment_fixed_size 0
		.amdhsa_kernarg_size 280
		.amdhsa_user_sgpr_count 2
		.amdhsa_user_sgpr_dispatch_ptr 0
		.amdhsa_user_sgpr_queue_ptr 0
		.amdhsa_user_sgpr_kernarg_segment_ptr 1
		.amdhsa_user_sgpr_dispatch_id 0
		.amdhsa_user_sgpr_kernarg_preload_length 0
		.amdhsa_user_sgpr_kernarg_preload_offset 0
		.amdhsa_user_sgpr_private_segment_size 0
		.amdhsa_uses_dynamic_stack 0
		.amdhsa_enable_private_segment 0
		.amdhsa_system_sgpr_workgroup_id_x 1
		.amdhsa_system_sgpr_workgroup_id_y 0
		.amdhsa_system_sgpr_workgroup_id_z 0
		.amdhsa_system_sgpr_workgroup_info 0
		.amdhsa_system_vgpr_workitem_id 0
		.amdhsa_next_free_vgpr 6
		.amdhsa_next_free_sgpr 12
		.amdhsa_accum_offset 8
		.amdhsa_reserve_vcc 1
		.amdhsa_float_round_mode_32 0
		.amdhsa_float_round_mode_16_64 0
		.amdhsa_float_denorm_mode_32 3
		.amdhsa_float_denorm_mode_16_64 3
		.amdhsa_dx10_clamp 1
		.amdhsa_ieee_mode 1
		.amdhsa_fp16_overflow 0
		.amdhsa_tg_split 0
		.amdhsa_exception_fp_ieee_invalid_op 0
		.amdhsa_exception_fp_denorm_src 0
		.amdhsa_exception_fp_ieee_div_zero 0
		.amdhsa_exception_fp_ieee_overflow 0
		.amdhsa_exception_fp_ieee_underflow 0
		.amdhsa_exception_fp_ieee_inexact 0
		.amdhsa_exception_int_div_zero 0
	.end_amdhsa_kernel
	.section	.text._ZN7rocprim17ROCPRIM_304000_NS6detail31init_lookback_scan_state_kernelINS1_19lookback_scan_stateIN3c104HalfELb1ELb1EEEEEvT_jjPNS7_10value_typeE,"axG",@progbits,_ZN7rocprim17ROCPRIM_304000_NS6detail31init_lookback_scan_state_kernelINS1_19lookback_scan_stateIN3c104HalfELb1ELb1EEEEEvT_jjPNS7_10value_typeE,comdat
.Lfunc_end101:
	.size	_ZN7rocprim17ROCPRIM_304000_NS6detail31init_lookback_scan_state_kernelINS1_19lookback_scan_stateIN3c104HalfELb1ELb1EEEEEvT_jjPNS7_10value_typeE, .Lfunc_end101-_ZN7rocprim17ROCPRIM_304000_NS6detail31init_lookback_scan_state_kernelINS1_19lookback_scan_stateIN3c104HalfELb1ELb1EEEEEvT_jjPNS7_10value_typeE
                                        ; -- End function
	.set _ZN7rocprim17ROCPRIM_304000_NS6detail31init_lookback_scan_state_kernelINS1_19lookback_scan_stateIN3c104HalfELb1ELb1EEEEEvT_jjPNS7_10value_typeE.num_vgpr, 6
	.set _ZN7rocprim17ROCPRIM_304000_NS6detail31init_lookback_scan_state_kernelINS1_19lookback_scan_stateIN3c104HalfELb1ELb1EEEEEvT_jjPNS7_10value_typeE.num_agpr, 0
	.set _ZN7rocprim17ROCPRIM_304000_NS6detail31init_lookback_scan_state_kernelINS1_19lookback_scan_stateIN3c104HalfELb1ELb1EEEEEvT_jjPNS7_10value_typeE.numbered_sgpr, 12
	.set _ZN7rocprim17ROCPRIM_304000_NS6detail31init_lookback_scan_state_kernelINS1_19lookback_scan_stateIN3c104HalfELb1ELb1EEEEEvT_jjPNS7_10value_typeE.num_named_barrier, 0
	.set _ZN7rocprim17ROCPRIM_304000_NS6detail31init_lookback_scan_state_kernelINS1_19lookback_scan_stateIN3c104HalfELb1ELb1EEEEEvT_jjPNS7_10value_typeE.private_seg_size, 0
	.set _ZN7rocprim17ROCPRIM_304000_NS6detail31init_lookback_scan_state_kernelINS1_19lookback_scan_stateIN3c104HalfELb1ELb1EEEEEvT_jjPNS7_10value_typeE.uses_vcc, 1
	.set _ZN7rocprim17ROCPRIM_304000_NS6detail31init_lookback_scan_state_kernelINS1_19lookback_scan_stateIN3c104HalfELb1ELb1EEEEEvT_jjPNS7_10value_typeE.uses_flat_scratch, 0
	.set _ZN7rocprim17ROCPRIM_304000_NS6detail31init_lookback_scan_state_kernelINS1_19lookback_scan_stateIN3c104HalfELb1ELb1EEEEEvT_jjPNS7_10value_typeE.has_dyn_sized_stack, 0
	.set _ZN7rocprim17ROCPRIM_304000_NS6detail31init_lookback_scan_state_kernelINS1_19lookback_scan_stateIN3c104HalfELb1ELb1EEEEEvT_jjPNS7_10value_typeE.has_recursion, 0
	.set _ZN7rocprim17ROCPRIM_304000_NS6detail31init_lookback_scan_state_kernelINS1_19lookback_scan_stateIN3c104HalfELb1ELb1EEEEEvT_jjPNS7_10value_typeE.has_indirect_call, 0
	.section	.AMDGPU.csdata,"",@progbits
; Kernel info:
; codeLenInByte = 312
; TotalNumSgprs: 18
; NumVgprs: 6
; NumAgprs: 0
; TotalNumVgprs: 6
; ScratchSize: 0
; MemoryBound: 0
; FloatMode: 240
; IeeeMode: 1
; LDSByteSize: 0 bytes/workgroup (compile time only)
; SGPRBlocks: 2
; VGPRBlocks: 0
; NumSGPRsForWavesPerEU: 18
; NumVGPRsForWavesPerEU: 6
; AccumOffset: 8
; Occupancy: 8
; WaveLimiterHint : 0
; COMPUTE_PGM_RSRC2:SCRATCH_EN: 0
; COMPUTE_PGM_RSRC2:USER_SGPR: 2
; COMPUTE_PGM_RSRC2:TRAP_HANDLER: 0
; COMPUTE_PGM_RSRC2:TGID_X_EN: 1
; COMPUTE_PGM_RSRC2:TGID_Y_EN: 0
; COMPUTE_PGM_RSRC2:TGID_Z_EN: 0
; COMPUTE_PGM_RSRC2:TIDIG_COMP_CNT: 0
; COMPUTE_PGM_RSRC3_GFX90A:ACCUM_OFFSET: 1
; COMPUTE_PGM_RSRC3_GFX90A:TG_SPLIT: 0
	.section	.text._ZN7rocprim17ROCPRIM_304000_NS6detail31init_lookback_scan_state_kernelINS1_19lookback_scan_stateIN3c104HalfELb0ELb1EEEEEvT_jjPNS7_10value_typeE,"axG",@progbits,_ZN7rocprim17ROCPRIM_304000_NS6detail31init_lookback_scan_state_kernelINS1_19lookback_scan_stateIN3c104HalfELb0ELb1EEEEEvT_jjPNS7_10value_typeE,comdat
	.protected	_ZN7rocprim17ROCPRIM_304000_NS6detail31init_lookback_scan_state_kernelINS1_19lookback_scan_stateIN3c104HalfELb0ELb1EEEEEvT_jjPNS7_10value_typeE ; -- Begin function _ZN7rocprim17ROCPRIM_304000_NS6detail31init_lookback_scan_state_kernelINS1_19lookback_scan_stateIN3c104HalfELb0ELb1EEEEEvT_jjPNS7_10value_typeE
	.globl	_ZN7rocprim17ROCPRIM_304000_NS6detail31init_lookback_scan_state_kernelINS1_19lookback_scan_stateIN3c104HalfELb0ELb1EEEEEvT_jjPNS7_10value_typeE
	.p2align	8
	.type	_ZN7rocprim17ROCPRIM_304000_NS6detail31init_lookback_scan_state_kernelINS1_19lookback_scan_stateIN3c104HalfELb0ELb1EEEEEvT_jjPNS7_10value_typeE,@function
_ZN7rocprim17ROCPRIM_304000_NS6detail31init_lookback_scan_state_kernelINS1_19lookback_scan_stateIN3c104HalfELb0ELb1EEEEEvT_jjPNS7_10value_typeE: ; @_ZN7rocprim17ROCPRIM_304000_NS6detail31init_lookback_scan_state_kernelINS1_19lookback_scan_stateIN3c104HalfELb0ELb1EEEEEvT_jjPNS7_10value_typeE
; %bb.0:
	s_load_dword s3, s[0:1], 0x24
	s_load_dwordx2 s[8:9], s[0:1], 0x10
	s_load_dwordx4 s[4:7], s[0:1], 0x0
	s_waitcnt lgkmcnt(0)
	s_and_b32 s0, s3, 0xffff
	s_mul_i32 s2, s2, s0
	s_cmp_eq_u64 s[8:9], 0
	v_add_u32_e32 v0, s2, v0
	s_cbranch_scc1 .LBB102_6
; %bb.1:
	s_cmp_lt_u32 s7, s6
	s_cselect_b32 s0, s7, 0
	s_mov_b32 s3, 0
	v_cmp_eq_u32_e32 vcc, s0, v0
	s_and_saveexec_b64 s[0:1], vcc
	s_cbranch_execz .LBB102_5
; %bb.2:
	s_add_i32 s2, s7, 64
	s_lshl_b64 s[2:3], s[2:3], 2
	s_add_u32 s2, s4, s2
	s_addc_u32 s3, s5, s3
	v_mov_b32_e32 v2, 0
	global_load_dword v1, v2, s[2:3] sc1
	s_waitcnt vmcnt(0)
	v_and_b32_e32 v3, 0xff0000, v1
	v_cmp_ne_u32_e32 vcc, 0, v3
	s_cbranch_vccnz .LBB102_4
.LBB102_3:                              ; =>This Inner Loop Header: Depth=1
	global_load_dword v1, v2, s[2:3] sc1
	s_waitcnt vmcnt(0)
	v_and_b32_e32 v3, 0xff0000, v1
	v_cmp_eq_u32_e32 vcc, 0, v3
	s_cbranch_vccnz .LBB102_3
.LBB102_4:
	v_mov_b32_e32 v2, 0
	global_store_short v2, v1, s[8:9]
.LBB102_5:
	s_or_b64 exec, exec, s[0:1]
.LBB102_6:
	v_cmp_gt_u32_e32 vcc, s6, v0
	s_and_saveexec_b64 s[0:1], vcc
	s_cbranch_execnz .LBB102_9
; %bb.7:
	s_or_b64 exec, exec, s[0:1]
	v_cmp_gt_u32_e32 vcc, 64, v0
	s_and_saveexec_b64 s[0:1], vcc
	s_cbranch_execnz .LBB102_10
.LBB102_8:
	s_endpgm
.LBB102_9:
	v_add_u32_e32 v2, 64, v0
	v_mov_b32_e32 v3, 0
	v_lshl_add_u64 v[4:5], v[2:3], 2, s[4:5]
	global_store_dword v[4:5], v3, off
	s_or_b64 exec, exec, s[0:1]
	v_cmp_gt_u32_e32 vcc, 64, v0
	s_and_saveexec_b64 s[0:1], vcc
	s_cbranch_execz .LBB102_8
.LBB102_10:
	v_mov_b32_e32 v1, 0
	v_lshl_add_u64 v[0:1], v[0:1], 2, s[4:5]
	v_mov_b32_e32 v2, 0xff0000
	global_store_dword v[0:1], v2, off
	s_endpgm
	.section	.rodata,"a",@progbits
	.p2align	6, 0x0
	.amdhsa_kernel _ZN7rocprim17ROCPRIM_304000_NS6detail31init_lookback_scan_state_kernelINS1_19lookback_scan_stateIN3c104HalfELb0ELb1EEEEEvT_jjPNS7_10value_typeE
		.amdhsa_group_segment_fixed_size 0
		.amdhsa_private_segment_fixed_size 0
		.amdhsa_kernarg_size 280
		.amdhsa_user_sgpr_count 2
		.amdhsa_user_sgpr_dispatch_ptr 0
		.amdhsa_user_sgpr_queue_ptr 0
		.amdhsa_user_sgpr_kernarg_segment_ptr 1
		.amdhsa_user_sgpr_dispatch_id 0
		.amdhsa_user_sgpr_kernarg_preload_length 0
		.amdhsa_user_sgpr_kernarg_preload_offset 0
		.amdhsa_user_sgpr_private_segment_size 0
		.amdhsa_uses_dynamic_stack 0
		.amdhsa_enable_private_segment 0
		.amdhsa_system_sgpr_workgroup_id_x 1
		.amdhsa_system_sgpr_workgroup_id_y 0
		.amdhsa_system_sgpr_workgroup_id_z 0
		.amdhsa_system_sgpr_workgroup_info 0
		.amdhsa_system_vgpr_workitem_id 0
		.amdhsa_next_free_vgpr 6
		.amdhsa_next_free_sgpr 10
		.amdhsa_accum_offset 8
		.amdhsa_reserve_vcc 1
		.amdhsa_float_round_mode_32 0
		.amdhsa_float_round_mode_16_64 0
		.amdhsa_float_denorm_mode_32 3
		.amdhsa_float_denorm_mode_16_64 3
		.amdhsa_dx10_clamp 1
		.amdhsa_ieee_mode 1
		.amdhsa_fp16_overflow 0
		.amdhsa_tg_split 0
		.amdhsa_exception_fp_ieee_invalid_op 0
		.amdhsa_exception_fp_denorm_src 0
		.amdhsa_exception_fp_ieee_div_zero 0
		.amdhsa_exception_fp_ieee_overflow 0
		.amdhsa_exception_fp_ieee_underflow 0
		.amdhsa_exception_fp_ieee_inexact 0
		.amdhsa_exception_int_div_zero 0
	.end_amdhsa_kernel
	.section	.text._ZN7rocprim17ROCPRIM_304000_NS6detail31init_lookback_scan_state_kernelINS1_19lookback_scan_stateIN3c104HalfELb0ELb1EEEEEvT_jjPNS7_10value_typeE,"axG",@progbits,_ZN7rocprim17ROCPRIM_304000_NS6detail31init_lookback_scan_state_kernelINS1_19lookback_scan_stateIN3c104HalfELb0ELb1EEEEEvT_jjPNS7_10value_typeE,comdat
.Lfunc_end102:
	.size	_ZN7rocprim17ROCPRIM_304000_NS6detail31init_lookback_scan_state_kernelINS1_19lookback_scan_stateIN3c104HalfELb0ELb1EEEEEvT_jjPNS7_10value_typeE, .Lfunc_end102-_ZN7rocprim17ROCPRIM_304000_NS6detail31init_lookback_scan_state_kernelINS1_19lookback_scan_stateIN3c104HalfELb0ELb1EEEEEvT_jjPNS7_10value_typeE
                                        ; -- End function
	.set _ZN7rocprim17ROCPRIM_304000_NS6detail31init_lookback_scan_state_kernelINS1_19lookback_scan_stateIN3c104HalfELb0ELb1EEEEEvT_jjPNS7_10value_typeE.num_vgpr, 6
	.set _ZN7rocprim17ROCPRIM_304000_NS6detail31init_lookback_scan_state_kernelINS1_19lookback_scan_stateIN3c104HalfELb0ELb1EEEEEvT_jjPNS7_10value_typeE.num_agpr, 0
	.set _ZN7rocprim17ROCPRIM_304000_NS6detail31init_lookback_scan_state_kernelINS1_19lookback_scan_stateIN3c104HalfELb0ELb1EEEEEvT_jjPNS7_10value_typeE.numbered_sgpr, 10
	.set _ZN7rocprim17ROCPRIM_304000_NS6detail31init_lookback_scan_state_kernelINS1_19lookback_scan_stateIN3c104HalfELb0ELb1EEEEEvT_jjPNS7_10value_typeE.num_named_barrier, 0
	.set _ZN7rocprim17ROCPRIM_304000_NS6detail31init_lookback_scan_state_kernelINS1_19lookback_scan_stateIN3c104HalfELb0ELb1EEEEEvT_jjPNS7_10value_typeE.private_seg_size, 0
	.set _ZN7rocprim17ROCPRIM_304000_NS6detail31init_lookback_scan_state_kernelINS1_19lookback_scan_stateIN3c104HalfELb0ELb1EEEEEvT_jjPNS7_10value_typeE.uses_vcc, 1
	.set _ZN7rocprim17ROCPRIM_304000_NS6detail31init_lookback_scan_state_kernelINS1_19lookback_scan_stateIN3c104HalfELb0ELb1EEEEEvT_jjPNS7_10value_typeE.uses_flat_scratch, 0
	.set _ZN7rocprim17ROCPRIM_304000_NS6detail31init_lookback_scan_state_kernelINS1_19lookback_scan_stateIN3c104HalfELb0ELb1EEEEEvT_jjPNS7_10value_typeE.has_dyn_sized_stack, 0
	.set _ZN7rocprim17ROCPRIM_304000_NS6detail31init_lookback_scan_state_kernelINS1_19lookback_scan_stateIN3c104HalfELb0ELb1EEEEEvT_jjPNS7_10value_typeE.has_recursion, 0
	.set _ZN7rocprim17ROCPRIM_304000_NS6detail31init_lookback_scan_state_kernelINS1_19lookback_scan_stateIN3c104HalfELb0ELb1EEEEEvT_jjPNS7_10value_typeE.has_indirect_call, 0
	.section	.AMDGPU.csdata,"",@progbits
; Kernel info:
; codeLenInByte = 272
; TotalNumSgprs: 16
; NumVgprs: 6
; NumAgprs: 0
; TotalNumVgprs: 6
; ScratchSize: 0
; MemoryBound: 0
; FloatMode: 240
; IeeeMode: 1
; LDSByteSize: 0 bytes/workgroup (compile time only)
; SGPRBlocks: 1
; VGPRBlocks: 0
; NumSGPRsForWavesPerEU: 16
; NumVGPRsForWavesPerEU: 6
; AccumOffset: 8
; Occupancy: 8
; WaveLimiterHint : 0
; COMPUTE_PGM_RSRC2:SCRATCH_EN: 0
; COMPUTE_PGM_RSRC2:USER_SGPR: 2
; COMPUTE_PGM_RSRC2:TRAP_HANDLER: 0
; COMPUTE_PGM_RSRC2:TGID_X_EN: 1
; COMPUTE_PGM_RSRC2:TGID_Y_EN: 0
; COMPUTE_PGM_RSRC2:TGID_Z_EN: 0
; COMPUTE_PGM_RSRC2:TIDIG_COMP_CNT: 0
; COMPUTE_PGM_RSRC3_GFX90A:ACCUM_OFFSET: 1
; COMPUTE_PGM_RSRC3_GFX90A:TG_SPLIT: 0
	.section	.text._ZN7rocprim17ROCPRIM_304000_NS6detail20lookback_scan_kernelILNS1_25lookback_scan_determinismE0ELb0ENS1_19wrapped_scan_configINS0_14default_configEN3c104HalfEEEPKS7_PS7_St4plusIS7_ES7_S7_NS1_19lookback_scan_stateIS7_Lb1ELb1EEEEEvT2_T3_mT5_T4_T7_jPT6_SM_bb,"axG",@progbits,_ZN7rocprim17ROCPRIM_304000_NS6detail20lookback_scan_kernelILNS1_25lookback_scan_determinismE0ELb0ENS1_19wrapped_scan_configINS0_14default_configEN3c104HalfEEEPKS7_PS7_St4plusIS7_ES7_S7_NS1_19lookback_scan_stateIS7_Lb1ELb1EEEEEvT2_T3_mT5_T4_T7_jPT6_SM_bb,comdat
	.protected	_ZN7rocprim17ROCPRIM_304000_NS6detail20lookback_scan_kernelILNS1_25lookback_scan_determinismE0ELb0ENS1_19wrapped_scan_configINS0_14default_configEN3c104HalfEEEPKS7_PS7_St4plusIS7_ES7_S7_NS1_19lookback_scan_stateIS7_Lb1ELb1EEEEEvT2_T3_mT5_T4_T7_jPT6_SM_bb ; -- Begin function _ZN7rocprim17ROCPRIM_304000_NS6detail20lookback_scan_kernelILNS1_25lookback_scan_determinismE0ELb0ENS1_19wrapped_scan_configINS0_14default_configEN3c104HalfEEEPKS7_PS7_St4plusIS7_ES7_S7_NS1_19lookback_scan_stateIS7_Lb1ELb1EEEEEvT2_T3_mT5_T4_T7_jPT6_SM_bb
	.globl	_ZN7rocprim17ROCPRIM_304000_NS6detail20lookback_scan_kernelILNS1_25lookback_scan_determinismE0ELb0ENS1_19wrapped_scan_configINS0_14default_configEN3c104HalfEEEPKS7_PS7_St4plusIS7_ES7_S7_NS1_19lookback_scan_stateIS7_Lb1ELb1EEEEEvT2_T3_mT5_T4_T7_jPT6_SM_bb
	.p2align	8
	.type	_ZN7rocprim17ROCPRIM_304000_NS6detail20lookback_scan_kernelILNS1_25lookback_scan_determinismE0ELb0ENS1_19wrapped_scan_configINS0_14default_configEN3c104HalfEEEPKS7_PS7_St4plusIS7_ES7_S7_NS1_19lookback_scan_stateIS7_Lb1ELb1EEEEEvT2_T3_mT5_T4_T7_jPT6_SM_bb,@function
_ZN7rocprim17ROCPRIM_304000_NS6detail20lookback_scan_kernelILNS1_25lookback_scan_determinismE0ELb0ENS1_19wrapped_scan_configINS0_14default_configEN3c104HalfEEEPKS7_PS7_St4plusIS7_ES7_S7_NS1_19lookback_scan_stateIS7_Lb1ELb1EEEEEvT2_T3_mT5_T4_T7_jPT6_SM_bb: ; @_ZN7rocprim17ROCPRIM_304000_NS6detail20lookback_scan_kernelILNS1_25lookback_scan_determinismE0ELb0ENS1_19wrapped_scan_configINS0_14default_configEN3c104HalfEEEPKS7_PS7_St4plusIS7_ES7_S7_NS1_19lookback_scan_stateIS7_Lb1ELb1EEEEEvT2_T3_mT5_T4_T7_jPT6_SM_bb
; %bb.0:
	s_endpgm
	.section	.rodata,"a",@progbits
	.p2align	6, 0x0
	.amdhsa_kernel _ZN7rocprim17ROCPRIM_304000_NS6detail20lookback_scan_kernelILNS1_25lookback_scan_determinismE0ELb0ENS1_19wrapped_scan_configINS0_14default_configEN3c104HalfEEEPKS7_PS7_St4plusIS7_ES7_S7_NS1_19lookback_scan_stateIS7_Lb1ELb1EEEEEvT2_T3_mT5_T4_T7_jPT6_SM_bb
		.amdhsa_group_segment_fixed_size 0
		.amdhsa_private_segment_fixed_size 0
		.amdhsa_kernarg_size 68
		.amdhsa_user_sgpr_count 2
		.amdhsa_user_sgpr_dispatch_ptr 0
		.amdhsa_user_sgpr_queue_ptr 0
		.amdhsa_user_sgpr_kernarg_segment_ptr 1
		.amdhsa_user_sgpr_dispatch_id 0
		.amdhsa_user_sgpr_kernarg_preload_length 0
		.amdhsa_user_sgpr_kernarg_preload_offset 0
		.amdhsa_user_sgpr_private_segment_size 0
		.amdhsa_uses_dynamic_stack 0
		.amdhsa_enable_private_segment 0
		.amdhsa_system_sgpr_workgroup_id_x 1
		.amdhsa_system_sgpr_workgroup_id_y 0
		.amdhsa_system_sgpr_workgroup_id_z 0
		.amdhsa_system_sgpr_workgroup_info 0
		.amdhsa_system_vgpr_workitem_id 0
		.amdhsa_next_free_vgpr 1
		.amdhsa_next_free_sgpr 0
		.amdhsa_accum_offset 4
		.amdhsa_reserve_vcc 0
		.amdhsa_float_round_mode_32 0
		.amdhsa_float_round_mode_16_64 0
		.amdhsa_float_denorm_mode_32 3
		.amdhsa_float_denorm_mode_16_64 3
		.amdhsa_dx10_clamp 1
		.amdhsa_ieee_mode 1
		.amdhsa_fp16_overflow 0
		.amdhsa_tg_split 0
		.amdhsa_exception_fp_ieee_invalid_op 0
		.amdhsa_exception_fp_denorm_src 0
		.amdhsa_exception_fp_ieee_div_zero 0
		.amdhsa_exception_fp_ieee_overflow 0
		.amdhsa_exception_fp_ieee_underflow 0
		.amdhsa_exception_fp_ieee_inexact 0
		.amdhsa_exception_int_div_zero 0
	.end_amdhsa_kernel
	.section	.text._ZN7rocprim17ROCPRIM_304000_NS6detail20lookback_scan_kernelILNS1_25lookback_scan_determinismE0ELb0ENS1_19wrapped_scan_configINS0_14default_configEN3c104HalfEEEPKS7_PS7_St4plusIS7_ES7_S7_NS1_19lookback_scan_stateIS7_Lb1ELb1EEEEEvT2_T3_mT5_T4_T7_jPT6_SM_bb,"axG",@progbits,_ZN7rocprim17ROCPRIM_304000_NS6detail20lookback_scan_kernelILNS1_25lookback_scan_determinismE0ELb0ENS1_19wrapped_scan_configINS0_14default_configEN3c104HalfEEEPKS7_PS7_St4plusIS7_ES7_S7_NS1_19lookback_scan_stateIS7_Lb1ELb1EEEEEvT2_T3_mT5_T4_T7_jPT6_SM_bb,comdat
.Lfunc_end103:
	.size	_ZN7rocprim17ROCPRIM_304000_NS6detail20lookback_scan_kernelILNS1_25lookback_scan_determinismE0ELb0ENS1_19wrapped_scan_configINS0_14default_configEN3c104HalfEEEPKS7_PS7_St4plusIS7_ES7_S7_NS1_19lookback_scan_stateIS7_Lb1ELb1EEEEEvT2_T3_mT5_T4_T7_jPT6_SM_bb, .Lfunc_end103-_ZN7rocprim17ROCPRIM_304000_NS6detail20lookback_scan_kernelILNS1_25lookback_scan_determinismE0ELb0ENS1_19wrapped_scan_configINS0_14default_configEN3c104HalfEEEPKS7_PS7_St4plusIS7_ES7_S7_NS1_19lookback_scan_stateIS7_Lb1ELb1EEEEEvT2_T3_mT5_T4_T7_jPT6_SM_bb
                                        ; -- End function
	.set _ZN7rocprim17ROCPRIM_304000_NS6detail20lookback_scan_kernelILNS1_25lookback_scan_determinismE0ELb0ENS1_19wrapped_scan_configINS0_14default_configEN3c104HalfEEEPKS7_PS7_St4plusIS7_ES7_S7_NS1_19lookback_scan_stateIS7_Lb1ELb1EEEEEvT2_T3_mT5_T4_T7_jPT6_SM_bb.num_vgpr, 0
	.set _ZN7rocprim17ROCPRIM_304000_NS6detail20lookback_scan_kernelILNS1_25lookback_scan_determinismE0ELb0ENS1_19wrapped_scan_configINS0_14default_configEN3c104HalfEEEPKS7_PS7_St4plusIS7_ES7_S7_NS1_19lookback_scan_stateIS7_Lb1ELb1EEEEEvT2_T3_mT5_T4_T7_jPT6_SM_bb.num_agpr, 0
	.set _ZN7rocprim17ROCPRIM_304000_NS6detail20lookback_scan_kernelILNS1_25lookback_scan_determinismE0ELb0ENS1_19wrapped_scan_configINS0_14default_configEN3c104HalfEEEPKS7_PS7_St4plusIS7_ES7_S7_NS1_19lookback_scan_stateIS7_Lb1ELb1EEEEEvT2_T3_mT5_T4_T7_jPT6_SM_bb.numbered_sgpr, 0
	.set _ZN7rocprim17ROCPRIM_304000_NS6detail20lookback_scan_kernelILNS1_25lookback_scan_determinismE0ELb0ENS1_19wrapped_scan_configINS0_14default_configEN3c104HalfEEEPKS7_PS7_St4plusIS7_ES7_S7_NS1_19lookback_scan_stateIS7_Lb1ELb1EEEEEvT2_T3_mT5_T4_T7_jPT6_SM_bb.num_named_barrier, 0
	.set _ZN7rocprim17ROCPRIM_304000_NS6detail20lookback_scan_kernelILNS1_25lookback_scan_determinismE0ELb0ENS1_19wrapped_scan_configINS0_14default_configEN3c104HalfEEEPKS7_PS7_St4plusIS7_ES7_S7_NS1_19lookback_scan_stateIS7_Lb1ELb1EEEEEvT2_T3_mT5_T4_T7_jPT6_SM_bb.private_seg_size, 0
	.set _ZN7rocprim17ROCPRIM_304000_NS6detail20lookback_scan_kernelILNS1_25lookback_scan_determinismE0ELb0ENS1_19wrapped_scan_configINS0_14default_configEN3c104HalfEEEPKS7_PS7_St4plusIS7_ES7_S7_NS1_19lookback_scan_stateIS7_Lb1ELb1EEEEEvT2_T3_mT5_T4_T7_jPT6_SM_bb.uses_vcc, 0
	.set _ZN7rocprim17ROCPRIM_304000_NS6detail20lookback_scan_kernelILNS1_25lookback_scan_determinismE0ELb0ENS1_19wrapped_scan_configINS0_14default_configEN3c104HalfEEEPKS7_PS7_St4plusIS7_ES7_S7_NS1_19lookback_scan_stateIS7_Lb1ELb1EEEEEvT2_T3_mT5_T4_T7_jPT6_SM_bb.uses_flat_scratch, 0
	.set _ZN7rocprim17ROCPRIM_304000_NS6detail20lookback_scan_kernelILNS1_25lookback_scan_determinismE0ELb0ENS1_19wrapped_scan_configINS0_14default_configEN3c104HalfEEEPKS7_PS7_St4plusIS7_ES7_S7_NS1_19lookback_scan_stateIS7_Lb1ELb1EEEEEvT2_T3_mT5_T4_T7_jPT6_SM_bb.has_dyn_sized_stack, 0
	.set _ZN7rocprim17ROCPRIM_304000_NS6detail20lookback_scan_kernelILNS1_25lookback_scan_determinismE0ELb0ENS1_19wrapped_scan_configINS0_14default_configEN3c104HalfEEEPKS7_PS7_St4plusIS7_ES7_S7_NS1_19lookback_scan_stateIS7_Lb1ELb1EEEEEvT2_T3_mT5_T4_T7_jPT6_SM_bb.has_recursion, 0
	.set _ZN7rocprim17ROCPRIM_304000_NS6detail20lookback_scan_kernelILNS1_25lookback_scan_determinismE0ELb0ENS1_19wrapped_scan_configINS0_14default_configEN3c104HalfEEEPKS7_PS7_St4plusIS7_ES7_S7_NS1_19lookback_scan_stateIS7_Lb1ELb1EEEEEvT2_T3_mT5_T4_T7_jPT6_SM_bb.has_indirect_call, 0
	.section	.AMDGPU.csdata,"",@progbits
; Kernel info:
; codeLenInByte = 4
; TotalNumSgprs: 6
; NumVgprs: 0
; NumAgprs: 0
; TotalNumVgprs: 0
; ScratchSize: 0
; MemoryBound: 0
; FloatMode: 240
; IeeeMode: 1
; LDSByteSize: 0 bytes/workgroup (compile time only)
; SGPRBlocks: 0
; VGPRBlocks: 0
; NumSGPRsForWavesPerEU: 6
; NumVGPRsForWavesPerEU: 1
; AccumOffset: 4
; Occupancy: 8
; WaveLimiterHint : 0
; COMPUTE_PGM_RSRC2:SCRATCH_EN: 0
; COMPUTE_PGM_RSRC2:USER_SGPR: 2
; COMPUTE_PGM_RSRC2:TRAP_HANDLER: 0
; COMPUTE_PGM_RSRC2:TGID_X_EN: 1
; COMPUTE_PGM_RSRC2:TGID_Y_EN: 0
; COMPUTE_PGM_RSRC2:TGID_Z_EN: 0
; COMPUTE_PGM_RSRC2:TIDIG_COMP_CNT: 0
; COMPUTE_PGM_RSRC3_GFX90A:ACCUM_OFFSET: 0
; COMPUTE_PGM_RSRC3_GFX90A:TG_SPLIT: 0
	.section	.text._ZN7rocprim17ROCPRIM_304000_NS6detail20lookback_scan_kernelILNS1_25lookback_scan_determinismE0ELb0ENS1_19wrapped_scan_configINS0_14default_configEN3c104HalfEEEPKS7_PS7_St4plusIS7_ES7_S7_NS1_19lookback_scan_stateIS7_Lb0ELb1EEEEEvT2_T3_mT5_T4_T7_jPT6_SM_bb,"axG",@progbits,_ZN7rocprim17ROCPRIM_304000_NS6detail20lookback_scan_kernelILNS1_25lookback_scan_determinismE0ELb0ENS1_19wrapped_scan_configINS0_14default_configEN3c104HalfEEEPKS7_PS7_St4plusIS7_ES7_S7_NS1_19lookback_scan_stateIS7_Lb0ELb1EEEEEvT2_T3_mT5_T4_T7_jPT6_SM_bb,comdat
	.protected	_ZN7rocprim17ROCPRIM_304000_NS6detail20lookback_scan_kernelILNS1_25lookback_scan_determinismE0ELb0ENS1_19wrapped_scan_configINS0_14default_configEN3c104HalfEEEPKS7_PS7_St4plusIS7_ES7_S7_NS1_19lookback_scan_stateIS7_Lb0ELb1EEEEEvT2_T3_mT5_T4_T7_jPT6_SM_bb ; -- Begin function _ZN7rocprim17ROCPRIM_304000_NS6detail20lookback_scan_kernelILNS1_25lookback_scan_determinismE0ELb0ENS1_19wrapped_scan_configINS0_14default_configEN3c104HalfEEEPKS7_PS7_St4plusIS7_ES7_S7_NS1_19lookback_scan_stateIS7_Lb0ELb1EEEEEvT2_T3_mT5_T4_T7_jPT6_SM_bb
	.globl	_ZN7rocprim17ROCPRIM_304000_NS6detail20lookback_scan_kernelILNS1_25lookback_scan_determinismE0ELb0ENS1_19wrapped_scan_configINS0_14default_configEN3c104HalfEEEPKS7_PS7_St4plusIS7_ES7_S7_NS1_19lookback_scan_stateIS7_Lb0ELb1EEEEEvT2_T3_mT5_T4_T7_jPT6_SM_bb
	.p2align	8
	.type	_ZN7rocprim17ROCPRIM_304000_NS6detail20lookback_scan_kernelILNS1_25lookback_scan_determinismE0ELb0ENS1_19wrapped_scan_configINS0_14default_configEN3c104HalfEEEPKS7_PS7_St4plusIS7_ES7_S7_NS1_19lookback_scan_stateIS7_Lb0ELb1EEEEEvT2_T3_mT5_T4_T7_jPT6_SM_bb,@function
_ZN7rocprim17ROCPRIM_304000_NS6detail20lookback_scan_kernelILNS1_25lookback_scan_determinismE0ELb0ENS1_19wrapped_scan_configINS0_14default_configEN3c104HalfEEEPKS7_PS7_St4plusIS7_ES7_S7_NS1_19lookback_scan_stateIS7_Lb0ELb1EEEEEvT2_T3_mT5_T4_T7_jPT6_SM_bb: ; @_ZN7rocprim17ROCPRIM_304000_NS6detail20lookback_scan_kernelILNS1_25lookback_scan_determinismE0ELb0ENS1_19wrapped_scan_configINS0_14default_configEN3c104HalfEEEPKS7_PS7_St4plusIS7_ES7_S7_NS1_19lookback_scan_stateIS7_Lb0ELb1EEEEEvT2_T3_mT5_T4_T7_jPT6_SM_bb
; %bb.0:
	s_load_dword s3, s[0:1], 0x28
	s_load_dwordx4 s[12:15], s[0:1], 0x0
	s_load_dwordx2 s[4:5], s[0:1], 0x10
	s_mul_i32 s6, s2, 0x700
	s_mov_b32 s7, 0
	s_waitcnt lgkmcnt(0)
	s_add_i32 s3, s3, -1
	s_mul_i32 s8, s3, 0x700
	s_sub_u32 s26, s4, s8
	s_subb_u32 s27, s5, 0
	s_cmp_lg_u32 s2, s3
	s_cselect_b64 s[16:17], -1, 0
	s_lshl_b64 s[18:19], s[6:7], 1
	s_add_u32 s6, s12, s18
	s_addc_u32 s7, s13, s19
	s_mov_b64 s[4:5], -1
	s_and_b64 vcc, exec, s[16:17]
	v_lshlrev_b32_e32 v2, 1, v0
	s_cbranch_vccz .LBB104_2
; %bb.1:
	global_load_ushort v1, v2, s[6:7]
	global_load_ushort v3, v2, s[6:7] offset:256
	global_load_ushort v4, v2, s[6:7] offset:512
	;; [unrolled: 1-line block ×13, first 2 shown]
	s_mov_b64 s[4:5], 0
	s_waitcnt vmcnt(13)
	ds_write_b16 v2, v1
	s_waitcnt vmcnt(12)
	ds_write_b16 v2, v3 offset:256
	s_waitcnt vmcnt(11)
	ds_write_b16 v2, v4 offset:512
	;; [unrolled: 2-line block ×13, first 2 shown]
	s_waitcnt lgkmcnt(0)
	s_barrier
.LBB104_2:
	s_andn2_b64 vcc, exec, s[4:5]
	v_cmp_gt_u32_e64 s[4:5], s26, v0
	s_cbranch_vccnz .LBB104_32
; %bb.3:
	v_mov_b32_e32 v3, 0
	global_load_ushort v1, v3, s[6:7]
	v_lshl_add_u64 v[4:5], s[6:7], 0, v[2:3]
	s_waitcnt vmcnt(0)
	v_mov_b32_e32 v3, v1
	s_and_saveexec_b64 s[6:7], s[4:5]
	s_cbranch_execz .LBB104_5
; %bb.4:
	global_load_ushort v3, v[4:5], off
.LBB104_5:
	s_or_b64 exec, exec, s[6:7]
	v_or_b32_e32 v6, 0x80, v0
	v_cmp_gt_u32_e32 vcc, s26, v6
	v_mov_b32_e32 v6, v1
	s_and_saveexec_b64 s[4:5], vcc
	s_cbranch_execz .LBB104_7
; %bb.6:
	global_load_ushort v6, v[4:5], off offset:256
.LBB104_7:
	s_or_b64 exec, exec, s[4:5]
	v_or_b32_e32 v7, 0x100, v0
	v_cmp_gt_u32_e32 vcc, s26, v7
	v_mov_b32_e32 v7, v1
	s_and_saveexec_b64 s[4:5], vcc
	s_cbranch_execz .LBB104_9
; %bb.8:
	global_load_ushort v7, v[4:5], off offset:512
.LBB104_9:
	;; [unrolled: 9-line block ×12, first 2 shown]
	s_or_b64 exec, exec, s[4:5]
	v_or_b32_e32 v18, 0x680, v0
	v_cmp_gt_u32_e32 vcc, s26, v18
	s_and_saveexec_b64 s[4:5], vcc
	s_cbranch_execz .LBB104_31
; %bb.30:
	global_load_ushort v1, v[4:5], off offset:3328
.LBB104_31:
	s_or_b64 exec, exec, s[4:5]
	s_waitcnt vmcnt(0)
	ds_write_b16 v2, v3
	ds_write_b16 v2, v6 offset:256
	ds_write_b16 v2, v7 offset:512
	;; [unrolled: 1-line block ×13, first 2 shown]
	s_waitcnt lgkmcnt(0)
	s_barrier
.LBB104_32:
	v_mul_u32_u24_e32 v1, 28, v0
	ds_read2_b32 v[8:9], v1 offset1:1
	ds_read2_b32 v[6:7], v1 offset0:2 offset1:3
	ds_read2_b32 v[4:5], v1 offset0:4 offset1:5
	ds_read_b32 v3, v1 offset:24
	s_load_dwordx2 s[20:21], s[0:1], 0x20
	s_cmp_lg_u32 s2, 0
	v_mbcnt_lo_u32_b32 v18, -1, 0
	v_lshrrev_b32_e32 v16, 6, v0
	v_or_b32_e32 v17, 63, v0
	s_waitcnt lgkmcnt(0)
	s_barrier
	s_cbranch_scc0 .LBB104_58
; %bb.33:
	v_add_f16_sdwa v10, v8, v8 dst_sel:DWORD dst_unused:UNUSED_PAD src0_sel:DWORD src1_sel:WORD_1
	v_add_f16_e32 v10, v10, v9
	v_add_f16_sdwa v10, v10, v9 dst_sel:DWORD dst_unused:UNUSED_PAD src0_sel:DWORD src1_sel:WORD_1
	v_add_f16_e32 v10, v10, v6
	;; [unrolled: 2-line block ×6, first 2 shown]
	v_add_f16_sdwa v10, v10, v3 dst_sel:DWORD dst_unused:UNUSED_PAD src0_sel:DWORD src1_sel:WORD_1
	v_mbcnt_hi_u32_b32 v11, -1, v18
	v_and_b32_e32 v12, 15, v11
	v_mov_b32_dpp v13, v10 row_shr:1 row_mask:0xf bank_mask:0xf
	v_add_f16_e32 v13, v10, v13
	v_cmp_eq_u32_e32 vcc, 0, v12
	s_nop 1
	v_cndmask_b32_e32 v10, v13, v10, vcc
	v_and_b32_e32 v13, 0xffff, v10
	v_cmp_lt_u32_e32 vcc, 1, v12
	s_nop 0
	v_mov_b32_dpp v13, v13 row_shr:2 row_mask:0xf bank_mask:0xf
	v_add_f16_e32 v13, v10, v13
	v_cndmask_b32_e32 v10, v10, v13, vcc
	v_and_b32_e32 v13, 0xffff, v10
	v_cmp_lt_u32_e32 vcc, 3, v12
	s_nop 0
	v_mov_b32_dpp v13, v13 row_shr:4 row_mask:0xf bank_mask:0xf
	v_add_f16_e32 v13, v10, v13
	;; [unrolled: 6-line block ×3, first 2 shown]
	v_cndmask_b32_e32 v10, v10, v13, vcc
	v_and_b32_e32 v12, 0xffff, v10
	v_and_b32_e32 v13, 16, v11
	v_cmp_eq_u32_e32 vcc, 0, v13
	v_mov_b32_dpp v12, v12 row_bcast:15 row_mask:0xf bank_mask:0xf
	v_add_f16_e32 v12, v10, v12
	v_cndmask_b32_e32 v10, v12, v10, vcc
	v_and_b32_e32 v12, 0xffff, v10
	v_cmp_lt_u32_e32 vcc, 31, v11
	s_nop 0
	v_mov_b32_dpp v12, v12 row_bcast:31 row_mask:0xf bank_mask:0xf
	v_add_f16_e32 v12, v10, v12
	v_cndmask_b32_e32 v10, v10, v12, vcc
	v_cmp_eq_u32_e32 vcc, v0, v17
	s_and_saveexec_b64 s[4:5], vcc
; %bb.34:
	v_lshlrev_b32_e32 v12, 1, v16
	ds_write_b16 v12, v10
; %bb.35:
	s_or_b64 exec, exec, s[4:5]
	v_cmp_gt_u32_e32 vcc, 2, v0
	s_waitcnt lgkmcnt(0)
	s_barrier
	s_and_saveexec_b64 s[4:5], vcc
	s_cbranch_execz .LBB104_37
; %bb.36:
	ds_read_u16 v12, v2
	v_and_b32_e32 v13, 1, v11
	v_cmp_eq_u32_e32 vcc, 0, v13
	s_waitcnt lgkmcnt(0)
	v_and_b32_e32 v14, 0xffff, v12
	s_nop 1
	v_mov_b32_dpp v14, v14 row_shr:1 row_mask:0xf bank_mask:0xf
	v_add_f16_e32 v14, v12, v14
	v_cndmask_b32_e32 v12, v14, v12, vcc
	ds_write_b16 v2, v12
.LBB104_37:
	s_or_b64 exec, exec, s[4:5]
	v_cmp_gt_u32_e32 vcc, 64, v0
	v_cmp_lt_u32_e64 s[4:5], 63, v0
	s_waitcnt lgkmcnt(0)
	s_barrier
                                        ; implicit-def: $vgpr19
	s_and_saveexec_b64 s[6:7], s[4:5]
	s_cbranch_execz .LBB104_39
; %bb.38:
	v_lshl_add_u32 v12, v16, 1, -2
	ds_read_u16 v19, v12
	s_waitcnt lgkmcnt(0)
	v_add_f16_e32 v10, v10, v19
.LBB104_39:
	s_or_b64 exec, exec, s[6:7]
	v_subrev_co_u32_e64 v12, s[12:13], 1, v11
	v_and_b32_e32 v13, 64, v11
	v_cmp_lt_i32_e64 s[4:5], v12, v13
	v_and_b32_e32 v10, 0xffff, v10
	s_nop 0
	v_cndmask_b32_e64 v12, v12, v11, s[4:5]
	v_lshlrev_b32_e32 v12, 2, v12
	ds_bpermute_b32 v20, v12, v10
	s_and_saveexec_b64 s[22:23], vcc
	s_cbranch_execz .LBB104_63
; %bb.40:
	v_mov_b32_e32 v13, 0
	ds_read_u16 v21, v13 offset:2
	s_and_saveexec_b64 s[4:5], s[12:13]
	s_cbranch_execz .LBB104_42
; %bb.41:
	s_add_i32 s6, s2, 64
	s_mov_b32 s7, 0
	s_lshl_b64 s[6:7], s[6:7], 2
	s_add_u32 s6, s20, s6
	s_waitcnt lgkmcnt(0)
	v_or_b32_e32 v10, 0x10000, v21
	s_addc_u32 s7, s21, s7
	global_store_dword v13, v10, s[6:7] sc1
.LBB104_42:
	s_or_b64 exec, exec, s[4:5]
	v_xad_u32 v10, v11, -1, s2
	v_add_u32_e32 v12, 64, v10
	v_lshl_add_u64 v[14:15], v[12:13], 2, s[20:21]
	global_load_dword v37, v[14:15], off sc1
	s_waitcnt vmcnt(0)
	v_lshrrev_b32_e32 v22, 16, v37
	v_cmp_eq_u16_sdwa s[6:7], v22, v13 src0_sel:BYTE_0 src1_sel:DWORD
	s_and_saveexec_b64 s[4:5], s[6:7]
	s_cbranch_execz .LBB104_46
; %bb.43:
	s_mov_b64 s[6:7], 0
	v_mov_b32_e32 v12, 0
.LBB104_44:                             ; =>This Inner Loop Header: Depth=1
	global_load_dword v37, v[14:15], off sc1
	s_waitcnt vmcnt(0)
	v_lshrrev_b32_e32 v22, 16, v37
	v_cmp_ne_u16_sdwa s[8:9], v22, v12 src0_sel:BYTE_0 src1_sel:DWORD
	s_or_b64 s[6:7], s[8:9], s[6:7]
	s_andn2_b64 exec, exec, s[6:7]
	s_cbranch_execnz .LBB104_44
; %bb.45:
	s_or_b64 exec, exec, s[6:7]
.LBB104_46:
	s_or_b64 exec, exec, s[4:5]
	v_and_b32_e32 v32, 63, v11
	v_cmp_ne_u32_e32 vcc, 63, v32
	v_mov_b32_e32 v23, 2
	v_cmp_eq_u16_sdwa s[4:5], v22, v23 src0_sel:BYTE_0 src1_sel:DWORD
	v_addc_co_u32_e32 v24, vcc, 0, v11, vcc
	v_lshlrev_b64 v[12:13], v11, -1
	v_lshlrev_b32_e32 v24, 2, v24
	v_and_b32_e32 v26, 0xffff, v37
	v_and_b32_e32 v14, s5, v13
	ds_bpermute_b32 v27, v24, v26
	v_or_b32_e32 v14, 0x80000000, v14
	v_and_b32_e32 v15, s4, v12
	v_ffbl_b32_e32 v14, v14
	v_add_u32_e32 v14, 32, v14
	v_ffbl_b32_e32 v15, v15
	v_min_u32_e32 v42, v15, v14
	v_add_u32_e32 v25, 1, v11
	v_cmp_gt_u32_e32 vcc, 62, v32
	s_waitcnt lgkmcnt(0)
	v_add_f16_e32 v14, v37, v27
	v_cmp_le_u32_e64 s[6:7], v25, v42
	v_cndmask_b32_e64 v15, 0, 2, vcc
	v_add_u32_e32 v27, 2, v11
	v_cndmask_b32_e64 v28, v26, v14, s[6:7]
	v_add_lshl_u32 v26, v15, v11, 2
	ds_bpermute_b32 v15, v26, v28
	v_cndmask_b32_e64 v30, v37, v14, s[6:7]
	v_cmp_le_u32_e32 vcc, v27, v42
	v_cmp_gt_u32_e64 s[4:5], 60, v32
	v_add_u32_e32 v29, 4, v11
	s_waitcnt lgkmcnt(0)
	v_add_f16_e32 v15, v30, v15
	v_cndmask_b32_e32 v31, v28, v15, vcc
	v_cndmask_b32_e64 v28, 0, 4, s[4:5]
	v_add_lshl_u32 v28, v28, v11, 2
	ds_bpermute_b32 v33, v28, v31
	v_cndmask_b32_e32 v35, v30, v15, vcc
	v_cmp_gt_u32_e64 s[8:9], 56, v32
	v_cmp_le_u32_e64 s[4:5], v29, v42
	s_or_b64 s[10:11], s[6:7], vcc
	s_waitcnt lgkmcnt(0)
	v_add_f16_e32 v34, v35, v33
	v_cndmask_b32_e64 v30, 0, 8, s[8:9]
	v_cndmask_b32_e64 v33, v31, v34, s[4:5]
	v_add_lshl_u32 v30, v30, v11, 2
	ds_bpermute_b32 v36, v30, v33
	v_add_u32_e32 v31, 8, v11
	v_cndmask_b32_e64 v35, v35, v34, s[4:5]
	v_cmp_gt_u32_e64 s[8:9], 48, v32
	v_cmp_le_u32_e64 s[6:7], v31, v42
	s_waitcnt lgkmcnt(0)
	v_add_f16_e32 v38, v35, v36
	v_cndmask_b32_e64 v32, 0, 16, s[8:9]
	v_cndmask_b32_e64 v36, v33, v38, s[6:7]
	v_add_lshl_u32 v32, v32, v11, 2
	ds_bpermute_b32 v39, v32, v36
	s_or_b64 s[8:9], s[4:5], s[10:11]
	v_add_u32_e32 v33, 16, v11
	v_cndmask_b32_e64 v40, v35, v38, s[6:7]
	s_or_b64 s[10:11], s[6:7], s[8:9]
	s_waitcnt lgkmcnt(0)
	v_add_f16_e32 v39, v40, v39
	v_cmp_le_u32_e64 s[8:9], v33, v42
	v_mov_b32_e32 v35, 0x80
	v_lshl_or_b32 v35, v11, 2, v35
	v_cndmask_b32_e64 v36, v36, v39, s[8:9]
	ds_bpermute_b32 v41, v35, v36
	v_add_u32_e32 v36, 32, v11
	s_or_b64 s[24:25], s[8:9], s[10:11]
	v_cmp_le_u32_e64 s[10:11], v36, v42
	s_or_b64 s[28:29], s[10:11], s[24:25]
	s_and_saveexec_b64 s[24:25], s[28:29]
	s_cbranch_execz .LBB104_48
; %bb.47:
	v_cndmask_b32_e32 v14, v14, v15, vcc
	v_cndmask_b32_e64 v14, v14, v34, s[4:5]
	v_cndmask_b32_e64 v11, v40, v39, s[8:9]
	;; [unrolled: 1-line block ×3, first 2 shown]
	s_waitcnt lgkmcnt(0)
	v_add_f16_e32 v11, v11, v41
	v_cndmask_b32_e64 v14, v14, v39, s[8:9]
	v_cndmask_b32_e64 v37, v14, v11, s[10:11]
.LBB104_48:
	s_or_b64 exec, exec, s[24:25]
	v_mov_b32_e32 v11, 0
	s_branch .LBB104_51
.LBB104_49:                             ;   in Loop: Header=BB104_51 Depth=1
	s_or_b64 exec, exec, s[24:25]
	v_subrev_u32_e32 v10, 64, v10
	v_add_f16_e32 v37, v37, v34
	s_mov_b64 s[4:5], 0
.LBB104_50:                             ;   in Loop: Header=BB104_51 Depth=1
	s_and_b64 vcc, exec, s[4:5]
	s_cbranch_vccnz .LBB104_59
.LBB104_51:                             ; =>This Loop Header: Depth=1
                                        ;     Child Loop BB104_54 Depth 2
	v_cmp_ne_u16_sdwa s[4:5], v22, v23 src0_sel:BYTE_0 src1_sel:DWORD
	v_mov_b32_e32 v34, v37
	s_cmp_lg_u64 s[4:5], exec
	s_mov_b64 s[4:5], -1
                                        ; implicit-def: $vgpr37
                                        ; implicit-def: $vgpr22
	s_cbranch_scc1 .LBB104_50
; %bb.52:                               ;   in Loop: Header=BB104_51 Depth=1
	v_lshl_add_u64 v[14:15], v[10:11], 2, s[20:21]
	global_load_dword v37, v[14:15], off sc1
	s_waitcnt vmcnt(0)
	v_lshrrev_b32_e32 v22, 16, v37
	v_cmp_eq_u16_sdwa s[6:7], v22, v11 src0_sel:BYTE_0 src1_sel:DWORD
	s_and_saveexec_b64 s[4:5], s[6:7]
	s_cbranch_execz .LBB104_56
; %bb.53:                               ;   in Loop: Header=BB104_51 Depth=1
	s_mov_b64 s[6:7], 0
.LBB104_54:                             ;   Parent Loop BB104_51 Depth=1
                                        ; =>  This Inner Loop Header: Depth=2
	global_load_dword v37, v[14:15], off sc1
	s_waitcnt vmcnt(0)
	v_lshrrev_b32_e32 v22, 16, v37
	v_cmp_ne_u16_sdwa s[8:9], v22, v11 src0_sel:BYTE_0 src1_sel:DWORD
	s_or_b64 s[6:7], s[8:9], s[6:7]
	s_andn2_b64 exec, exec, s[6:7]
	s_cbranch_execnz .LBB104_54
; %bb.55:                               ;   in Loop: Header=BB104_51 Depth=1
	s_or_b64 exec, exec, s[6:7]
.LBB104_56:                             ;   in Loop: Header=BB104_51 Depth=1
	s_or_b64 exec, exec, s[4:5]
	v_cmp_eq_u16_sdwa s[4:5], v22, v23 src0_sel:BYTE_0 src1_sel:DWORD
	v_and_b32_e32 v38, 0xffff, v37
	ds_bpermute_b32 v39, v24, v38
	v_and_b32_e32 v14, s5, v13
	v_or_b32_e32 v14, 0x80000000, v14
	v_and_b32_e32 v15, s4, v12
	v_ffbl_b32_e32 v14, v14
	v_add_u32_e32 v14, 32, v14
	v_ffbl_b32_e32 v15, v15
	v_min_u32_e32 v43, v15, v14
	s_waitcnt lgkmcnt(0)
	v_add_f16_e32 v14, v37, v39
	v_cmp_le_u32_e64 s[8:9], v25, v43
	v_cmp_le_u32_e32 vcc, v27, v43
	v_cmp_le_u32_e64 s[4:5], v29, v43
	v_cndmask_b32_e64 v38, v38, v14, s[8:9]
	ds_bpermute_b32 v15, v26, v38
	v_cndmask_b32_e64 v39, v37, v14, s[8:9]
	v_cmp_le_u32_e64 s[6:7], v31, v43
	s_or_b64 s[8:9], s[8:9], vcc
	s_or_b64 s[10:11], s[4:5], s[8:9]
	s_waitcnt lgkmcnt(0)
	v_add_f16_e32 v15, v39, v15
	v_cndmask_b32_e32 v40, v38, v15, vcc
	ds_bpermute_b32 v38, v28, v40
	v_cndmask_b32_e32 v39, v39, v15, vcc
	v_cmp_le_u32_e64 s[8:9], v33, v43
	s_or_b64 s[10:11], s[6:7], s[10:11]
	s_or_b64 s[24:25], s[8:9], s[10:11]
	s_waitcnt lgkmcnt(0)
	v_add_f16_e32 v38, v39, v38
	v_cndmask_b32_e64 v40, v40, v38, s[4:5]
	ds_bpermute_b32 v41, v30, v40
	v_cndmask_b32_e64 v42, v39, v38, s[4:5]
	v_cmp_le_u32_e64 s[10:11], v36, v43
	s_or_b64 s[28:29], s[10:11], s[24:25]
	s_waitcnt lgkmcnt(0)
	v_add_f16_e32 v39, v42, v41
	v_cndmask_b32_e64 v44, v40, v39, s[6:7]
	ds_bpermute_b32 v40, v32, v44
	v_cndmask_b32_e64 v41, v42, v39, s[6:7]
	s_waitcnt lgkmcnt(0)
	v_add_f16_e32 v40, v41, v40
	v_cndmask_b32_e64 v42, v44, v40, s[8:9]
	ds_bpermute_b32 v42, v35, v42
	s_and_saveexec_b64 s[24:25], s[28:29]
	s_cbranch_execz .LBB104_49
; %bb.57:                               ;   in Loop: Header=BB104_51 Depth=1
	v_cndmask_b32_e32 v14, v14, v15, vcc
	v_cndmask_b32_e64 v14, v14, v38, s[4:5]
	v_cndmask_b32_e64 v37, v41, v40, s[8:9]
	;; [unrolled: 1-line block ×3, first 2 shown]
	s_waitcnt lgkmcnt(0)
	v_add_f16_e32 v37, v37, v42
	v_cndmask_b32_e64 v14, v14, v40, s[8:9]
	v_cndmask_b32_e64 v37, v14, v37, s[10:11]
	s_branch .LBB104_49
.LBB104_58:
                                        ; implicit-def: $vgpr11
                                        ; implicit-def: $vgpr10
                                        ; implicit-def: $vgpr12
                                        ; implicit-def: $vgpr14
                                        ; implicit-def: $vgpr13
                                        ; implicit-def: $vgpr15
                                        ; implicit-def: $vgpr19
                                        ; implicit-def: $vgpr21
                                        ; implicit-def: $vgpr20
                                        ; implicit-def: $vgpr22
                                        ; implicit-def: $vgpr23
                                        ; implicit-def: $vgpr24
                                        ; implicit-def: $vgpr25
                                        ; implicit-def: $vgpr26
	s_load_dwordx4 s[4:7], s[0:1], 0x30
	s_cbranch_execnz .LBB104_64
	s_branch .LBB104_75
.LBB104_59:
	s_and_saveexec_b64 s[4:5], s[12:13]
	s_cbranch_execz .LBB104_61
; %bb.60:
	s_add_i32 s2, s2, 64
	s_mov_b32 s3, 0
	s_lshl_b64 s[2:3], s[2:3], 2
	v_add_f16_e32 v10, v21, v34
	s_add_u32 s2, s20, s2
	v_or_b32_e32 v10, 0x20000, v10
	s_addc_u32 s3, s21, s3
	v_mov_b32_e32 v11, 0
	global_store_dword v11, v10, s[2:3] sc1
.LBB104_61:
	s_or_b64 exec, exec, s[4:5]
	v_cmp_eq_u32_e32 vcc, 0, v0
	s_and_b64 exec, exec, vcc
; %bb.62:
	v_mov_b32_e32 v10, 0
	ds_write_b16 v10, v34 offset:2
.LBB104_63:
	s_or_b64 exec, exec, s[22:23]
	v_mov_b32_e32 v10, 0
	s_waitcnt lgkmcnt(0)
	s_barrier
	ds_read_u16 v10, v10 offset:2
	v_cndmask_b32_e64 v11, v20, v19, s[12:13]
	v_add_f16_e32 v11, v8, v11
	v_cmp_eq_u32_e32 vcc, 0, v0
	s_nop 1
	v_cndmask_b32_e32 v11, v11, v8, vcc
	s_waitcnt lgkmcnt(0)
	v_add_f16_e32 v11, v11, v10
	v_add_f16_sdwa v10, v11, v8 dst_sel:DWORD dst_unused:UNUSED_PAD src0_sel:DWORD src1_sel:WORD_1
	v_add_f16_e32 v12, v10, v9
	v_add_f16_sdwa v14, v12, v9 dst_sel:DWORD dst_unused:UNUSED_PAD src0_sel:DWORD src1_sel:WORD_1
	v_add_f16_e32 v13, v14, v6
	v_add_f16_sdwa v15, v13, v6 dst_sel:DWORD dst_unused:UNUSED_PAD src0_sel:DWORD src1_sel:WORD_1
	v_add_f16_e32 v19, v15, v7
	v_add_f16_sdwa v21, v19, v7 dst_sel:DWORD dst_unused:UNUSED_PAD src0_sel:DWORD src1_sel:WORD_1
	v_add_f16_e32 v20, v21, v4
	v_add_f16_sdwa v22, v20, v4 dst_sel:DWORD dst_unused:UNUSED_PAD src0_sel:DWORD src1_sel:WORD_1
	v_add_f16_e32 v23, v22, v5
	v_add_f16_sdwa v24, v23, v5 dst_sel:DWORD dst_unused:UNUSED_PAD src0_sel:DWORD src1_sel:WORD_1
	v_add_f16_e32 v25, v24, v3
	v_add_f16_sdwa v26, v25, v3 dst_sel:DWORD dst_unused:UNUSED_PAD src0_sel:DWORD src1_sel:WORD_1
	s_load_dwordx4 s[4:7], s[0:1], 0x30
	s_branch .LBB104_75
.LBB104_64:
	s_load_dword s2, s[0:1], 0x40
	v_cmp_eq_u32_e32 vcc, 0, v0
	v_mov_b32_e32 v26, v8
	s_waitcnt lgkmcnt(0)
	s_bitcmp1_b32 s2, 0
	s_cselect_b64 s[2:3], -1, 0
	s_and_b64 s[8:9], vcc, s[2:3]
	s_and_saveexec_b64 s[2:3], s[8:9]
	s_cbranch_execz .LBB104_66
; %bb.65:
	v_mov_b32_e32 v10, 0
	global_load_ushort v10, v10, s[4:5]
	s_waitcnt vmcnt(0)
	v_add_f16_e32 v26, v10, v8
.LBB104_66:
	s_or_b64 exec, exec, s[2:3]
	v_add_f16_sdwa v10, v8, v26 dst_sel:DWORD dst_unused:UNUSED_PAD src0_sel:WORD_1 src1_sel:DWORD
	v_add_f16_e32 v10, v10, v9
	v_add_f16_sdwa v10, v10, v9 dst_sel:DWORD dst_unused:UNUSED_PAD src0_sel:DWORD src1_sel:WORD_1
	v_add_f16_e32 v10, v10, v6
	v_add_f16_sdwa v10, v10, v6 dst_sel:DWORD dst_unused:UNUSED_PAD src0_sel:DWORD src1_sel:WORD_1
	;; [unrolled: 2-line block ×6, first 2 shown]
	v_mbcnt_hi_u32_b32 v10, -1, v18
	v_and_b32_e32 v12, 15, v10
	v_mov_b32_dpp v13, v11 row_shr:1 row_mask:0xf bank_mask:0xf
	v_add_f16_e32 v13, v11, v13
	v_cmp_eq_u32_e64 s[2:3], 0, v12
	s_nop 1
	v_cndmask_b32_e64 v11, v13, v11, s[2:3]
	v_and_b32_e32 v13, 0xffff, v11
	v_cmp_lt_u32_e64 s[2:3], 1, v12
	s_nop 0
	v_mov_b32_dpp v13, v13 row_shr:2 row_mask:0xf bank_mask:0xf
	v_add_f16_e32 v13, v11, v13
	v_cndmask_b32_e64 v11, v11, v13, s[2:3]
	v_and_b32_e32 v13, 0xffff, v11
	v_cmp_lt_u32_e64 s[2:3], 3, v12
	s_nop 0
	v_mov_b32_dpp v13, v13 row_shr:4 row_mask:0xf bank_mask:0xf
	v_add_f16_e32 v13, v11, v13
	;; [unrolled: 6-line block ×3, first 2 shown]
	v_cndmask_b32_e64 v11, v11, v13, s[2:3]
	v_and_b32_e32 v12, 0xffff, v11
	v_and_b32_e32 v13, 16, v10
	v_cmp_eq_u32_e64 s[2:3], 0, v13
	v_mov_b32_dpp v12, v12 row_bcast:15 row_mask:0xf bank_mask:0xf
	v_add_f16_e32 v12, v11, v12
	v_cndmask_b32_e64 v11, v12, v11, s[2:3]
	v_and_b32_e32 v12, 0xffff, v11
	v_cmp_lt_u32_e64 s[2:3], 31, v10
	s_nop 0
	v_mov_b32_dpp v12, v12 row_bcast:31 row_mask:0xf bank_mask:0xf
	v_add_f16_e32 v12, v11, v12
	v_cndmask_b32_e64 v11, v11, v12, s[2:3]
	v_cmp_eq_u32_e64 s[2:3], v0, v17
	s_and_saveexec_b64 s[4:5], s[2:3]
; %bb.67:
	v_lshlrev_b32_e32 v12, 1, v16
	ds_write_b16 v12, v11
; %bb.68:
	s_or_b64 exec, exec, s[4:5]
	v_cmp_gt_u32_e64 s[2:3], 2, v0
	s_waitcnt lgkmcnt(0)
	s_barrier
	s_and_saveexec_b64 s[4:5], s[2:3]
	s_cbranch_execz .LBB104_70
; %bb.69:
	s_movk_i32 s2, 0xffe6
	v_mad_i32_i24 v12, v0, s2, v1
	ds_read_u16 v13, v12
	v_and_b32_e32 v14, 1, v10
	v_cmp_eq_u32_e64 s[2:3], 0, v14
	s_waitcnt lgkmcnt(0)
	v_and_b32_e32 v15, 0xffff, v13
	s_nop 1
	v_mov_b32_dpp v15, v15 row_shr:1 row_mask:0xf bank_mask:0xf
	v_add_f16_e32 v15, v13, v15
	v_cndmask_b32_e64 v13, v15, v13, s[2:3]
	ds_write_b16 v12, v13
.LBB104_70:
	s_or_b64 exec, exec, s[4:5]
	v_cmp_lt_u32_e64 s[2:3], 63, v0
	s_waitcnt lgkmcnt(0)
	s_barrier
                                        ; implicit-def: $vgpr12
	s_and_saveexec_b64 s[4:5], s[2:3]
	s_cbranch_execz .LBB104_72
; %bb.71:
	v_lshl_add_u32 v12, v16, 1, -2
	ds_read_u16 v12, v12
	s_waitcnt lgkmcnt(0)
	v_add_f16_e32 v11, v11, v12
.LBB104_72:
	s_or_b64 exec, exec, s[4:5]
	v_subrev_co_u32_e64 v13, s[2:3], 1, v10
	v_and_b32_e32 v14, 64, v10
	v_cmp_lt_i32_e64 s[4:5], v13, v14
	v_and_b32_e32 v11, 0xffff, v11
	s_nop 0
	v_cndmask_b32_e64 v10, v13, v10, s[4:5]
	v_lshlrev_b32_e32 v10, 2, v10
	ds_bpermute_b32 v10, v10, v11
	s_waitcnt lgkmcnt(0)
	v_cndmask_b32_e64 v10, v10, v12, s[2:3]
	v_add_f16_e32 v11, v26, v10
	v_cndmask_b32_e32 v10, v11, v26, vcc
	v_add_f16_sdwa v10, v10, v8 dst_sel:DWORD dst_unused:UNUSED_PAD src0_sel:DWORD src1_sel:WORD_1
	v_add_f16_e32 v12, v10, v9
	v_add_f16_sdwa v14, v12, v9 dst_sel:DWORD dst_unused:UNUSED_PAD src0_sel:DWORD src1_sel:WORD_1
	v_add_f16_e32 v13, v14, v6
	;; [unrolled: 2-line block ×6, first 2 shown]
	s_and_saveexec_b64 s[2:3], vcc
	s_cbranch_execz .LBB104_74
; %bb.73:
	v_mov_b32_e32 v4, 0
	ds_read_u16 v5, v4 offset:2
	v_mov_b32_e32 v11, v26
	s_waitcnt lgkmcnt(0)
	v_or_b32_e32 v5, 0x20000, v5
	global_store_dword v4, v5, s[20:21] offset:256 sc1
.LBB104_74:
	s_or_b64 exec, exec, s[2:3]
	v_add_f16_sdwa v26, v25, v3 dst_sel:DWORD dst_unused:UNUSED_PAD src0_sel:DWORD src1_sel:WORD_1
.LBB104_75:
	s_add_u32 s2, s14, s18
	s_addc_u32 s3, s15, s19
	s_waitcnt lgkmcnt(0)
	s_mov_b64 s[4:5], -1
	s_and_b64 vcc, exec, s[16:17]
	s_barrier
	s_cbranch_vccz .LBB104_77
; %bb.76:
	s_mov_b32 s4, 0x5040100
	v_perm_b32 v3, v14, v12, s4
	v_perm_b32 v4, v10, v11, s4
	ds_write2_b32 v1, v4, v3 offset1:1
	v_perm_b32 v3, v21, v19, s4
	v_perm_b32 v4, v15, v13, s4
	ds_write2_b32 v1, v4, v3 offset0:2 offset1:3
	v_perm_b32 v3, v24, v23, s4
	v_perm_b32 v4, v22, v20, s4
	ds_write2_b32 v1, v4, v3 offset0:4 offset1:5
	v_perm_b32 v3, v26, v25, s4
	ds_write_b32 v1, v3 offset:24
	s_waitcnt lgkmcnt(0)
	s_barrier
	ds_read_u16 v3, v2
	ds_read_u16 v4, v2 offset:256
	ds_read_u16 v5, v2 offset:512
	ds_read_u16 v6, v2 offset:768
	ds_read_u16 v7, v2 offset:1024
	ds_read_u16 v8, v2 offset:1280
	ds_read_u16 v9, v2 offset:1536
	ds_read_u16 v16, v2 offset:1792
	ds_read_u16 v17, v2 offset:2048
	ds_read_u16 v18, v2 offset:2304
	ds_read_u16 v27, v2 offset:2560
	ds_read_u16 v28, v2 offset:2816
	ds_read_u16 v29, v2 offset:3072
	ds_read_u16 v30, v2 offset:3328
	s_waitcnt lgkmcnt(13)
	global_store_short v2, v3, s[2:3]
	s_waitcnt lgkmcnt(12)
	global_store_short v2, v4, s[2:3] offset:256
	s_waitcnt lgkmcnt(11)
	global_store_short v2, v5, s[2:3] offset:512
	;; [unrolled: 2-line block ×13, first 2 shown]
	s_mov_b64 s[4:5], 0
.LBB104_77:
	s_andn2_b64 vcc, exec, s[4:5]
	s_cbranch_vccnz .LBB104_157
; %bb.78:
	s_mov_b32 s4, 0x5040100
	v_perm_b32 v3, v14, v12, s4
	v_perm_b32 v4, v10, v11, s4
	ds_write2_b32 v1, v4, v3 offset1:1
	v_perm_b32 v3, v21, v19, s4
	v_perm_b32 v4, v15, v13, s4
	ds_write2_b32 v1, v4, v3 offset0:2 offset1:3
	v_perm_b32 v3, v24, v23, s4
	v_perm_b32 v4, v22, v20, s4
	ds_write2_b32 v1, v4, v3 offset0:4 offset1:5
	v_perm_b32 v3, v26, v25, s4
	s_movk_i32 s4, 0xffe6
	ds_write_b32 v1, v3 offset:24
	v_mad_i32_i24 v1, v0, s4, v1
	s_waitcnt lgkmcnt(0)
	s_barrier
	ds_read_u16 v8, v1
	ds_read_u16 v7, v1 offset:256
	ds_read_u16 v9, v1 offset:512
	;; [unrolled: 1-line block ×13, first 2 shown]
	v_mov_b32_e32 v3, 0
	v_lshl_add_u64 v[4:5], s[2:3], 0, v[2:3]
	v_cmp_gt_u32_e32 vcc, s26, v0
	s_and_saveexec_b64 s[2:3], vcc
	s_cbranch_execz .LBB104_80
; %bb.79:
	s_waitcnt lgkmcnt(13)
	global_store_short v[4:5], v8, off
.LBB104_80:
	s_or_b64 exec, exec, s[2:3]
	v_or_b32_e32 v1, 0x80, v0
	v_cmp_gt_u32_e32 vcc, s26, v1
	s_and_saveexec_b64 s[2:3], vcc
	s_cbranch_execz .LBB104_82
; %bb.81:
	s_waitcnt lgkmcnt(12)
	global_store_short v[4:5], v7, off offset:256
.LBB104_82:
	s_or_b64 exec, exec, s[2:3]
	v_or_b32_e32 v1, 0x100, v0
	v_cmp_gt_u32_e32 vcc, s26, v1
	s_and_saveexec_b64 s[2:3], vcc
	s_cbranch_execz .LBB104_84
; %bb.83:
	s_waitcnt lgkmcnt(11)
	global_store_short v[4:5], v9, off offset:512
.LBB104_84:
	;; [unrolled: 9-line block ×13, first 2 shown]
	s_or_b64 exec, exec, s[2:3]
	s_load_dword s0, s[0:1], 0x40
	s_waitcnt lgkmcnt(0)
	s_bfe_u32 s0, s0, 0x10008
	s_cmp_eq_u32 s0, 0
	s_cbranch_scc1 .LBB104_157
; %bb.107:
	s_add_u32 s0, s26, -1
	s_addc_u32 s1, s27, -1
	s_lshr_b64 s[2:3], s[0:1], 1
	s_lshr_b32 s5, s1, 1
	s_mul_hi_u32 s3, s2, 0x49249249
	s_mul_i32 s4, s2, 0x49249249
	s_mul_i32 s9, s5, 0x24924925
	s_mul_hi_u32 s2, s2, 0x24924925
	s_mul_hi_u32 s8, s5, 0x24924925
	s_add_u32 s2, s9, s2
	s_addc_u32 s8, s8, 0
	s_add_u32 s2, s4, s2
	s_addc_u32 s2, s3, 0
	;; [unrolled: 2-line block ×3, first 2 shown]
	s_mul_hi_u32 s4, s5, 0x49249249
	s_mul_i32 s5, s5, 0x49249249
	s_add_u32 s2, s5, s2
	s_addc_u32 s3, s4, s3
	v_mov_b32_e32 v1, v3
	s_lshr_b64 s[2:3], s[2:3], 1
	v_cmp_eq_u64_e32 vcc, s[2:3], v[0:1]
	s_and_saveexec_b64 s[2:3], vcc
	s_cbranch_execz .LBB104_157
; %bb.108:
	v_mul_hi_u32_u24_e32 v1, 14, v0
	v_mul_u32_u24_e32 v0, 14, v0
	v_mov_b32_e32 v2, s1
	v_sub_co_u32_e32 v0, vcc, s0, v0
	s_nop 1
	v_subb_co_u32_e32 v1, vcc, v2, v1, vcc
	v_cmp_lt_i64_e32 vcc, 6, v[0:1]
	s_and_saveexec_b64 s[0:1], vcc
	s_xor_b64 s[0:1], exec, s[0:1]
	s_cbranch_execz .LBB104_134
; %bb.109:
	v_cmp_lt_i64_e32 vcc, 9, v[0:1]
	s_and_saveexec_b64 s[2:3], vcc
	s_xor_b64 s[2:3], exec, s[2:3]
	s_cbranch_execz .LBB104_123
; %bb.110:
	;; [unrolled: 5-line block ×4, first 2 shown]
	v_mov_b32_e32 v0, 0
	global_store_short v0, v6, s[6:7]
                                        ; implicit-def: $vgpr19
.LBB104_113:
	s_andn2_saveexec_b64 s[8:9], s[8:9]
	s_cbranch_execz .LBB104_115
; %bb.114:
	v_mov_b32_e32 v0, 0
	global_store_short v0, v19, s[6:7]
.LBB104_115:
	s_or_b64 exec, exec, s[8:9]
                                        ; implicit-def: $vgpr13
                                        ; implicit-def: $vgpr0_vgpr1
                                        ; implicit-def: $vgpr18
.LBB104_116:
	s_andn2_saveexec_b64 s[4:5], s[4:5]
	s_cbranch_execz .LBB104_122
; %bb.117:
	v_cmp_lt_i64_e32 vcc, 10, v[0:1]
	s_and_saveexec_b64 s[8:9], vcc
	s_xor_b64 s[8:9], exec, s[8:9]
	s_cbranch_execz .LBB104_119
; %bb.118:
	v_mov_b32_e32 v0, 0
	global_store_short v0, v18, s[6:7]
                                        ; implicit-def: $vgpr13
.LBB104_119:
	s_andn2_saveexec_b64 s[8:9], s[8:9]
	s_cbranch_execz .LBB104_121
; %bb.120:
	v_mov_b32_e32 v0, 0
	global_store_short v0, v13, s[6:7]
.LBB104_121:
	s_or_b64 exec, exec, s[8:9]
.LBB104_122:
	s_or_b64 exec, exec, s[4:5]
                                        ; implicit-def: $vgpr16
                                        ; implicit-def: $vgpr0_vgpr1
                                        ; implicit-def: $vgpr14
                                        ; implicit-def: $vgpr17
.LBB104_123:
	s_andn2_saveexec_b64 s[2:3], s[2:3]
	s_cbranch_execz .LBB104_133
; %bb.124:
	v_cmp_lt_i64_e32 vcc, 7, v[0:1]
	s_and_saveexec_b64 s[4:5], vcc
	s_xor_b64 s[4:5], exec, s[4:5]
	s_cbranch_execz .LBB104_130
; %bb.125:
	v_cmp_lt_i64_e32 vcc, 8, v[0:1]
	s_and_saveexec_b64 s[8:9], vcc
	s_xor_b64 s[8:9], exec, s[8:9]
	s_cbranch_execz .LBB104_127
; %bb.126:
	v_mov_b32_e32 v0, 0
	global_store_short v0, v17, s[6:7]
                                        ; implicit-def: $vgpr14
.LBB104_127:
	s_andn2_saveexec_b64 s[8:9], s[8:9]
	s_cbranch_execz .LBB104_129
; %bb.128:
	v_mov_b32_e32 v0, 0
	global_store_short v0, v14, s[6:7]
.LBB104_129:
	s_or_b64 exec, exec, s[8:9]
                                        ; implicit-def: $vgpr16
.LBB104_130:
	s_andn2_saveexec_b64 s[4:5], s[4:5]
	s_cbranch_execz .LBB104_132
; %bb.131:
	v_mov_b32_e32 v0, 0
	global_store_short v0, v16, s[6:7]
.LBB104_132:
	s_or_b64 exec, exec, s[4:5]
.LBB104_133:
	s_or_b64 exec, exec, s[2:3]
                                        ; implicit-def: $vgpr0_vgpr1
                                        ; implicit-def: $vgpr12
                                        ; implicit-def: $vgpr7
                                        ; implicit-def: $vgpr9
                                        ; implicit-def: $vgpr8
                                        ; implicit-def: $vgpr11
                                        ; implicit-def: $vgpr10
                                        ; implicit-def: $vgpr15
.LBB104_134:
	s_andn2_saveexec_b64 s[0:1], s[0:1]
	s_cbranch_execz .LBB104_157
; %bb.135:
	v_cmp_lt_i64_e32 vcc, 3, v[0:1]
	s_and_saveexec_b64 s[0:1], vcc
	s_xor_b64 s[0:1], exec, s[0:1]
	s_cbranch_execz .LBB104_145
; %bb.136:
	v_cmp_lt_i64_e32 vcc, 4, v[0:1]
	s_and_saveexec_b64 s[2:3], vcc
	s_xor_b64 s[2:3], exec, s[2:3]
	s_cbranch_execz .LBB104_142
; %bb.137:
	v_cmp_lt_i64_e32 vcc, 5, v[0:1]
	s_and_saveexec_b64 s[4:5], vcc
	s_xor_b64 s[4:5], exec, s[4:5]
	s_cbranch_execz .LBB104_139
; %bb.138:
	v_mov_b32_e32 v0, 0
	global_store_short v0, v15, s[6:7]
                                        ; implicit-def: $vgpr11
.LBB104_139:
	s_andn2_saveexec_b64 s[4:5], s[4:5]
	s_cbranch_execz .LBB104_141
; %bb.140:
	v_mov_b32_e32 v0, 0
	global_store_short v0, v11, s[6:7]
.LBB104_141:
	s_or_b64 exec, exec, s[4:5]
                                        ; implicit-def: $vgpr12
.LBB104_142:
	s_andn2_saveexec_b64 s[2:3], s[2:3]
	s_cbranch_execz .LBB104_144
; %bb.143:
	v_mov_b32_e32 v0, 0
	global_store_short v0, v12, s[6:7]
.LBB104_144:
	s_or_b64 exec, exec, s[2:3]
                                        ; implicit-def: $vgpr0_vgpr1
                                        ; implicit-def: $vgpr7
                                        ; implicit-def: $vgpr9
                                        ; implicit-def: $vgpr8
                                        ; implicit-def: $vgpr10
.LBB104_145:
	s_andn2_saveexec_b64 s[0:1], s[0:1]
	s_cbranch_execz .LBB104_157
; %bb.146:
	v_cmp_lt_i64_e32 vcc, 1, v[0:1]
	s_and_saveexec_b64 s[0:1], vcc
	s_xor_b64 s[0:1], exec, s[0:1]
	s_cbranch_execz .LBB104_152
; %bb.147:
	v_cmp_lt_i64_e32 vcc, 2, v[0:1]
	s_and_saveexec_b64 s[2:3], vcc
	s_xor_b64 s[2:3], exec, s[2:3]
	s_cbranch_execz .LBB104_149
; %bb.148:
	v_mov_b32_e32 v0, 0
	global_store_short v0, v10, s[6:7]
                                        ; implicit-def: $vgpr9
.LBB104_149:
	s_andn2_saveexec_b64 s[2:3], s[2:3]
	s_cbranch_execz .LBB104_151
; %bb.150:
	v_mov_b32_e32 v0, 0
	global_store_short v0, v9, s[6:7]
.LBB104_151:
	s_or_b64 exec, exec, s[2:3]
                                        ; implicit-def: $vgpr7
                                        ; implicit-def: $vgpr0_vgpr1
                                        ; implicit-def: $vgpr8
.LBB104_152:
	s_andn2_saveexec_b64 s[0:1], s[0:1]
	s_cbranch_execz .LBB104_157
; %bb.153:
	v_cmp_ne_u64_e32 vcc, 1, v[0:1]
	s_and_saveexec_b64 s[0:1], vcc
	s_xor_b64 s[0:1], exec, s[0:1]
	s_cbranch_execz .LBB104_155
; %bb.154:
	v_mov_b32_e32 v0, 0
	global_store_short v0, v8, s[6:7]
                                        ; implicit-def: $vgpr7
.LBB104_155:
	s_andn2_saveexec_b64 s[0:1], s[0:1]
	s_cbranch_execz .LBB104_157
; %bb.156:
	v_mov_b32_e32 v0, 0
	global_store_short v0, v7, s[6:7]
.LBB104_157:
	s_endpgm
	.section	.rodata,"a",@progbits
	.p2align	6, 0x0
	.amdhsa_kernel _ZN7rocprim17ROCPRIM_304000_NS6detail20lookback_scan_kernelILNS1_25lookback_scan_determinismE0ELb0ENS1_19wrapped_scan_configINS0_14default_configEN3c104HalfEEEPKS7_PS7_St4plusIS7_ES7_S7_NS1_19lookback_scan_stateIS7_Lb0ELb1EEEEEvT2_T3_mT5_T4_T7_jPT6_SM_bb
		.amdhsa_group_segment_fixed_size 3584
		.amdhsa_private_segment_fixed_size 0
		.amdhsa_kernarg_size 68
		.amdhsa_user_sgpr_count 2
		.amdhsa_user_sgpr_dispatch_ptr 0
		.amdhsa_user_sgpr_queue_ptr 0
		.amdhsa_user_sgpr_kernarg_segment_ptr 1
		.amdhsa_user_sgpr_dispatch_id 0
		.amdhsa_user_sgpr_kernarg_preload_length 0
		.amdhsa_user_sgpr_kernarg_preload_offset 0
		.amdhsa_user_sgpr_private_segment_size 0
		.amdhsa_uses_dynamic_stack 0
		.amdhsa_enable_private_segment 0
		.amdhsa_system_sgpr_workgroup_id_x 1
		.amdhsa_system_sgpr_workgroup_id_y 0
		.amdhsa_system_sgpr_workgroup_id_z 0
		.amdhsa_system_sgpr_workgroup_info 0
		.amdhsa_system_vgpr_workitem_id 0
		.amdhsa_next_free_vgpr 45
		.amdhsa_next_free_sgpr 30
		.amdhsa_accum_offset 48
		.amdhsa_reserve_vcc 1
		.amdhsa_float_round_mode_32 0
		.amdhsa_float_round_mode_16_64 0
		.amdhsa_float_denorm_mode_32 3
		.amdhsa_float_denorm_mode_16_64 3
		.amdhsa_dx10_clamp 1
		.amdhsa_ieee_mode 1
		.amdhsa_fp16_overflow 0
		.amdhsa_tg_split 0
		.amdhsa_exception_fp_ieee_invalid_op 0
		.amdhsa_exception_fp_denorm_src 0
		.amdhsa_exception_fp_ieee_div_zero 0
		.amdhsa_exception_fp_ieee_overflow 0
		.amdhsa_exception_fp_ieee_underflow 0
		.amdhsa_exception_fp_ieee_inexact 0
		.amdhsa_exception_int_div_zero 0
	.end_amdhsa_kernel
	.section	.text._ZN7rocprim17ROCPRIM_304000_NS6detail20lookback_scan_kernelILNS1_25lookback_scan_determinismE0ELb0ENS1_19wrapped_scan_configINS0_14default_configEN3c104HalfEEEPKS7_PS7_St4plusIS7_ES7_S7_NS1_19lookback_scan_stateIS7_Lb0ELb1EEEEEvT2_T3_mT5_T4_T7_jPT6_SM_bb,"axG",@progbits,_ZN7rocprim17ROCPRIM_304000_NS6detail20lookback_scan_kernelILNS1_25lookback_scan_determinismE0ELb0ENS1_19wrapped_scan_configINS0_14default_configEN3c104HalfEEEPKS7_PS7_St4plusIS7_ES7_S7_NS1_19lookback_scan_stateIS7_Lb0ELb1EEEEEvT2_T3_mT5_T4_T7_jPT6_SM_bb,comdat
.Lfunc_end104:
	.size	_ZN7rocprim17ROCPRIM_304000_NS6detail20lookback_scan_kernelILNS1_25lookback_scan_determinismE0ELb0ENS1_19wrapped_scan_configINS0_14default_configEN3c104HalfEEEPKS7_PS7_St4plusIS7_ES7_S7_NS1_19lookback_scan_stateIS7_Lb0ELb1EEEEEvT2_T3_mT5_T4_T7_jPT6_SM_bb, .Lfunc_end104-_ZN7rocprim17ROCPRIM_304000_NS6detail20lookback_scan_kernelILNS1_25lookback_scan_determinismE0ELb0ENS1_19wrapped_scan_configINS0_14default_configEN3c104HalfEEEPKS7_PS7_St4plusIS7_ES7_S7_NS1_19lookback_scan_stateIS7_Lb0ELb1EEEEEvT2_T3_mT5_T4_T7_jPT6_SM_bb
                                        ; -- End function
	.set _ZN7rocprim17ROCPRIM_304000_NS6detail20lookback_scan_kernelILNS1_25lookback_scan_determinismE0ELb0ENS1_19wrapped_scan_configINS0_14default_configEN3c104HalfEEEPKS7_PS7_St4plusIS7_ES7_S7_NS1_19lookback_scan_stateIS7_Lb0ELb1EEEEEvT2_T3_mT5_T4_T7_jPT6_SM_bb.num_vgpr, 45
	.set _ZN7rocprim17ROCPRIM_304000_NS6detail20lookback_scan_kernelILNS1_25lookback_scan_determinismE0ELb0ENS1_19wrapped_scan_configINS0_14default_configEN3c104HalfEEEPKS7_PS7_St4plusIS7_ES7_S7_NS1_19lookback_scan_stateIS7_Lb0ELb1EEEEEvT2_T3_mT5_T4_T7_jPT6_SM_bb.num_agpr, 0
	.set _ZN7rocprim17ROCPRIM_304000_NS6detail20lookback_scan_kernelILNS1_25lookback_scan_determinismE0ELb0ENS1_19wrapped_scan_configINS0_14default_configEN3c104HalfEEEPKS7_PS7_St4plusIS7_ES7_S7_NS1_19lookback_scan_stateIS7_Lb0ELb1EEEEEvT2_T3_mT5_T4_T7_jPT6_SM_bb.numbered_sgpr, 30
	.set _ZN7rocprim17ROCPRIM_304000_NS6detail20lookback_scan_kernelILNS1_25lookback_scan_determinismE0ELb0ENS1_19wrapped_scan_configINS0_14default_configEN3c104HalfEEEPKS7_PS7_St4plusIS7_ES7_S7_NS1_19lookback_scan_stateIS7_Lb0ELb1EEEEEvT2_T3_mT5_T4_T7_jPT6_SM_bb.num_named_barrier, 0
	.set _ZN7rocprim17ROCPRIM_304000_NS6detail20lookback_scan_kernelILNS1_25lookback_scan_determinismE0ELb0ENS1_19wrapped_scan_configINS0_14default_configEN3c104HalfEEEPKS7_PS7_St4plusIS7_ES7_S7_NS1_19lookback_scan_stateIS7_Lb0ELb1EEEEEvT2_T3_mT5_T4_T7_jPT6_SM_bb.private_seg_size, 0
	.set _ZN7rocprim17ROCPRIM_304000_NS6detail20lookback_scan_kernelILNS1_25lookback_scan_determinismE0ELb0ENS1_19wrapped_scan_configINS0_14default_configEN3c104HalfEEEPKS7_PS7_St4plusIS7_ES7_S7_NS1_19lookback_scan_stateIS7_Lb0ELb1EEEEEvT2_T3_mT5_T4_T7_jPT6_SM_bb.uses_vcc, 1
	.set _ZN7rocprim17ROCPRIM_304000_NS6detail20lookback_scan_kernelILNS1_25lookback_scan_determinismE0ELb0ENS1_19wrapped_scan_configINS0_14default_configEN3c104HalfEEEPKS7_PS7_St4plusIS7_ES7_S7_NS1_19lookback_scan_stateIS7_Lb0ELb1EEEEEvT2_T3_mT5_T4_T7_jPT6_SM_bb.uses_flat_scratch, 0
	.set _ZN7rocprim17ROCPRIM_304000_NS6detail20lookback_scan_kernelILNS1_25lookback_scan_determinismE0ELb0ENS1_19wrapped_scan_configINS0_14default_configEN3c104HalfEEEPKS7_PS7_St4plusIS7_ES7_S7_NS1_19lookback_scan_stateIS7_Lb0ELb1EEEEEvT2_T3_mT5_T4_T7_jPT6_SM_bb.has_dyn_sized_stack, 0
	.set _ZN7rocprim17ROCPRIM_304000_NS6detail20lookback_scan_kernelILNS1_25lookback_scan_determinismE0ELb0ENS1_19wrapped_scan_configINS0_14default_configEN3c104HalfEEEPKS7_PS7_St4plusIS7_ES7_S7_NS1_19lookback_scan_stateIS7_Lb0ELb1EEEEEvT2_T3_mT5_T4_T7_jPT6_SM_bb.has_recursion, 0
	.set _ZN7rocprim17ROCPRIM_304000_NS6detail20lookback_scan_kernelILNS1_25lookback_scan_determinismE0ELb0ENS1_19wrapped_scan_configINS0_14default_configEN3c104HalfEEEPKS7_PS7_St4plusIS7_ES7_S7_NS1_19lookback_scan_stateIS7_Lb0ELb1EEEEEvT2_T3_mT5_T4_T7_jPT6_SM_bb.has_indirect_call, 0
	.section	.AMDGPU.csdata,"",@progbits
; Kernel info:
; codeLenInByte = 5608
; TotalNumSgprs: 36
; NumVgprs: 45
; NumAgprs: 0
; TotalNumVgprs: 45
; ScratchSize: 0
; MemoryBound: 0
; FloatMode: 240
; IeeeMode: 1
; LDSByteSize: 3584 bytes/workgroup (compile time only)
; SGPRBlocks: 4
; VGPRBlocks: 5
; NumSGPRsForWavesPerEU: 36
; NumVGPRsForWavesPerEU: 45
; AccumOffset: 48
; Occupancy: 8
; WaveLimiterHint : 1
; COMPUTE_PGM_RSRC2:SCRATCH_EN: 0
; COMPUTE_PGM_RSRC2:USER_SGPR: 2
; COMPUTE_PGM_RSRC2:TRAP_HANDLER: 0
; COMPUTE_PGM_RSRC2:TGID_X_EN: 1
; COMPUTE_PGM_RSRC2:TGID_Y_EN: 0
; COMPUTE_PGM_RSRC2:TGID_Z_EN: 0
; COMPUTE_PGM_RSRC2:TIDIG_COMP_CNT: 0
; COMPUTE_PGM_RSRC3_GFX90A:ACCUM_OFFSET: 11
; COMPUTE_PGM_RSRC3_GFX90A:TG_SPLIT: 0
	.section	.text._ZN7rocprim17ROCPRIM_304000_NS6detail16transform_kernelINS1_24wrapped_transform_configINS0_14default_configEN3c104HalfEEES6_PS6_S8_NS0_8identityIS6_EEEEvT1_mT2_T3_,"axG",@progbits,_ZN7rocprim17ROCPRIM_304000_NS6detail16transform_kernelINS1_24wrapped_transform_configINS0_14default_configEN3c104HalfEEES6_PS6_S8_NS0_8identityIS6_EEEEvT1_mT2_T3_,comdat
	.protected	_ZN7rocprim17ROCPRIM_304000_NS6detail16transform_kernelINS1_24wrapped_transform_configINS0_14default_configEN3c104HalfEEES6_PS6_S8_NS0_8identityIS6_EEEEvT1_mT2_T3_ ; -- Begin function _ZN7rocprim17ROCPRIM_304000_NS6detail16transform_kernelINS1_24wrapped_transform_configINS0_14default_configEN3c104HalfEEES6_PS6_S8_NS0_8identityIS6_EEEEvT1_mT2_T3_
	.globl	_ZN7rocprim17ROCPRIM_304000_NS6detail16transform_kernelINS1_24wrapped_transform_configINS0_14default_configEN3c104HalfEEES6_PS6_S8_NS0_8identityIS6_EEEEvT1_mT2_T3_
	.p2align	8
	.type	_ZN7rocprim17ROCPRIM_304000_NS6detail16transform_kernelINS1_24wrapped_transform_configINS0_14default_configEN3c104HalfEEES6_PS6_S8_NS0_8identityIS6_EEEEvT1_mT2_T3_,@function
_ZN7rocprim17ROCPRIM_304000_NS6detail16transform_kernelINS1_24wrapped_transform_configINS0_14default_configEN3c104HalfEEES6_PS6_S8_NS0_8identityIS6_EEEEvT1_mT2_T3_: ; @_ZN7rocprim17ROCPRIM_304000_NS6detail16transform_kernelINS1_24wrapped_transform_configINS0_14default_configEN3c104HalfEEES6_PS6_S8_NS0_8identityIS6_EEEEvT1_mT2_T3_
; %bb.0:
	s_load_dword s3, s[0:1], 0x20
	s_load_dwordx4 s[4:7], s[0:1], 0x0
	s_load_dwordx2 s[8:9], s[0:1], 0x10
	s_lshl_b32 s0, s2, 9
	s_mov_b32 s1, 0
	s_waitcnt lgkmcnt(0)
	s_add_i32 s3, s3, -1
	s_lshl_b64 s[10:11], s[0:1], 1
	s_add_u32 s4, s4, s10
	s_addc_u32 s5, s5, s11
	v_mov_b32_e32 v3, 0
	v_lshlrev_b32_e32 v2, 1, v0
	s_cmp_lg_u32 s2, s3
	v_lshl_add_u64 v[4:5], s[4:5], 0, v[2:3]
	s_cbranch_scc0 .LBB105_2
; %bb.1:
	global_load_ushort v1, v[4:5], off
	global_load_ushort v3, v[4:5], off offset:256
	global_load_ushort v7, v[4:5], off offset:512
	;; [unrolled: 1-line block ×3, first 2 shown]
	s_add_u32 s4, s8, s10
	s_addc_u32 s5, s9, s11
	s_waitcnt vmcnt(3)
	global_store_short v2, v1, s[4:5]
	s_waitcnt vmcnt(3)
	global_store_short v2, v3, s[4:5] offset:256
	s_waitcnt vmcnt(3)
	global_store_short v2, v7, s[4:5] offset:512
	s_mov_b64 s[4:5], -1
	s_cbranch_execz .LBB105_3
	s_branch .LBB105_16
.LBB105_2:
	s_mov_b64 s[4:5], 0
                                        ; implicit-def: $vgpr6
.LBB105_3:
	s_sub_i32 s6, s6, s0
	v_cmp_gt_u32_e32 vcc, s6, v0
                                        ; implicit-def: $vgpr7
	s_and_saveexec_b64 s[0:1], vcc
	s_cbranch_execz .LBB105_5
; %bb.4:
	global_load_ushort v7, v[4:5], off
.LBB105_5:
	s_or_b64 exec, exec, s[0:1]
	v_or_b32_e32 v1, 0x80, v0
	v_cmp_gt_u32_e64 s[0:1], s6, v1
                                        ; implicit-def: $vgpr8
	s_and_saveexec_b64 s[2:3], s[0:1]
	s_cbranch_execz .LBB105_7
; %bb.6:
	global_load_ushort v8, v[4:5], off offset:256
.LBB105_7:
	s_or_b64 exec, exec, s[2:3]
	v_or_b32_e32 v1, 0x100, v0
	v_cmp_gt_u32_e64 s[2:3], s6, v1
                                        ; implicit-def: $vgpr9
	s_and_saveexec_b64 s[4:5], s[2:3]
	s_cbranch_execz .LBB105_9
; %bb.8:
	global_load_ushort v9, v[4:5], off offset:512
.LBB105_9:
	s_or_b64 exec, exec, s[4:5]
	v_or_b32_e32 v0, 0x180, v0
	v_cmp_gt_u32_e64 s[4:5], s6, v0
                                        ; implicit-def: $vgpr6
	s_and_saveexec_b64 s[6:7], s[4:5]
	s_cbranch_execz .LBB105_11
; %bb.10:
	global_load_ushort v6, v[4:5], off offset:768
.LBB105_11:
	s_or_b64 exec, exec, s[6:7]
	s_add_u32 s6, s8, s10
	s_addc_u32 s7, s9, s11
	v_mov_b32_e32 v3, 0
	v_lshl_add_u64 v[0:1], s[6:7], 0, v[2:3]
	s_and_saveexec_b64 s[6:7], vcc
	s_cbranch_execnz .LBB105_19
; %bb.12:
	s_or_b64 exec, exec, s[6:7]
	s_and_saveexec_b64 s[6:7], s[0:1]
	s_cbranch_execnz .LBB105_20
.LBB105_13:
	s_or_b64 exec, exec, s[6:7]
	s_and_saveexec_b64 s[0:1], s[2:3]
	s_cbranch_execz .LBB105_15
.LBB105_14:
	s_waitcnt vmcnt(0)
	global_store_short v[0:1], v9, off offset:512
.LBB105_15:
	s_or_b64 exec, exec, s[0:1]
.LBB105_16:
	s_and_saveexec_b64 s[0:1], s[4:5]
	s_cbranch_execnz .LBB105_18
; %bb.17:
	s_endpgm
.LBB105_18:
	s_add_u32 s0, s8, s10
	s_addc_u32 s1, s9, s11
	s_waitcnt vmcnt(0)
	global_store_short v2, v6, s[0:1] offset:768
	s_endpgm
.LBB105_19:
	s_waitcnt vmcnt(0)
	global_store_short v[0:1], v7, off
	s_or_b64 exec, exec, s[6:7]
	s_and_saveexec_b64 s[6:7], s[0:1]
	s_cbranch_execz .LBB105_13
.LBB105_20:
	s_waitcnt vmcnt(0)
	global_store_short v[0:1], v8, off offset:256
	s_or_b64 exec, exec, s[6:7]
	s_and_saveexec_b64 s[0:1], s[2:3]
	s_cbranch_execnz .LBB105_14
	s_branch .LBB105_15
	.section	.rodata,"a",@progbits
	.p2align	6, 0x0
	.amdhsa_kernel _ZN7rocprim17ROCPRIM_304000_NS6detail16transform_kernelINS1_24wrapped_transform_configINS0_14default_configEN3c104HalfEEES6_PS6_S8_NS0_8identityIS6_EEEEvT1_mT2_T3_
		.amdhsa_group_segment_fixed_size 0
		.amdhsa_private_segment_fixed_size 0
		.amdhsa_kernarg_size 288
		.amdhsa_user_sgpr_count 2
		.amdhsa_user_sgpr_dispatch_ptr 0
		.amdhsa_user_sgpr_queue_ptr 0
		.amdhsa_user_sgpr_kernarg_segment_ptr 1
		.amdhsa_user_sgpr_dispatch_id 0
		.amdhsa_user_sgpr_kernarg_preload_length 0
		.amdhsa_user_sgpr_kernarg_preload_offset 0
		.amdhsa_user_sgpr_private_segment_size 0
		.amdhsa_uses_dynamic_stack 0
		.amdhsa_enable_private_segment 0
		.amdhsa_system_sgpr_workgroup_id_x 1
		.amdhsa_system_sgpr_workgroup_id_y 0
		.amdhsa_system_sgpr_workgroup_id_z 0
		.amdhsa_system_sgpr_workgroup_info 0
		.amdhsa_system_vgpr_workitem_id 0
		.amdhsa_next_free_vgpr 10
		.amdhsa_next_free_sgpr 12
		.amdhsa_accum_offset 12
		.amdhsa_reserve_vcc 1
		.amdhsa_float_round_mode_32 0
		.amdhsa_float_round_mode_16_64 0
		.amdhsa_float_denorm_mode_32 3
		.amdhsa_float_denorm_mode_16_64 3
		.amdhsa_dx10_clamp 1
		.amdhsa_ieee_mode 1
		.amdhsa_fp16_overflow 0
		.amdhsa_tg_split 0
		.amdhsa_exception_fp_ieee_invalid_op 0
		.amdhsa_exception_fp_denorm_src 0
		.amdhsa_exception_fp_ieee_div_zero 0
		.amdhsa_exception_fp_ieee_overflow 0
		.amdhsa_exception_fp_ieee_underflow 0
		.amdhsa_exception_fp_ieee_inexact 0
		.amdhsa_exception_int_div_zero 0
	.end_amdhsa_kernel
	.section	.text._ZN7rocprim17ROCPRIM_304000_NS6detail16transform_kernelINS1_24wrapped_transform_configINS0_14default_configEN3c104HalfEEES6_PS6_S8_NS0_8identityIS6_EEEEvT1_mT2_T3_,"axG",@progbits,_ZN7rocprim17ROCPRIM_304000_NS6detail16transform_kernelINS1_24wrapped_transform_configINS0_14default_configEN3c104HalfEEES6_PS6_S8_NS0_8identityIS6_EEEEvT1_mT2_T3_,comdat
.Lfunc_end105:
	.size	_ZN7rocprim17ROCPRIM_304000_NS6detail16transform_kernelINS1_24wrapped_transform_configINS0_14default_configEN3c104HalfEEES6_PS6_S8_NS0_8identityIS6_EEEEvT1_mT2_T3_, .Lfunc_end105-_ZN7rocprim17ROCPRIM_304000_NS6detail16transform_kernelINS1_24wrapped_transform_configINS0_14default_configEN3c104HalfEEES6_PS6_S8_NS0_8identityIS6_EEEEvT1_mT2_T3_
                                        ; -- End function
	.set _ZN7rocprim17ROCPRIM_304000_NS6detail16transform_kernelINS1_24wrapped_transform_configINS0_14default_configEN3c104HalfEEES6_PS6_S8_NS0_8identityIS6_EEEEvT1_mT2_T3_.num_vgpr, 10
	.set _ZN7rocprim17ROCPRIM_304000_NS6detail16transform_kernelINS1_24wrapped_transform_configINS0_14default_configEN3c104HalfEEES6_PS6_S8_NS0_8identityIS6_EEEEvT1_mT2_T3_.num_agpr, 0
	.set _ZN7rocprim17ROCPRIM_304000_NS6detail16transform_kernelINS1_24wrapped_transform_configINS0_14default_configEN3c104HalfEEES6_PS6_S8_NS0_8identityIS6_EEEEvT1_mT2_T3_.numbered_sgpr, 12
	.set _ZN7rocprim17ROCPRIM_304000_NS6detail16transform_kernelINS1_24wrapped_transform_configINS0_14default_configEN3c104HalfEEES6_PS6_S8_NS0_8identityIS6_EEEEvT1_mT2_T3_.num_named_barrier, 0
	.set _ZN7rocprim17ROCPRIM_304000_NS6detail16transform_kernelINS1_24wrapped_transform_configINS0_14default_configEN3c104HalfEEES6_PS6_S8_NS0_8identityIS6_EEEEvT1_mT2_T3_.private_seg_size, 0
	.set _ZN7rocprim17ROCPRIM_304000_NS6detail16transform_kernelINS1_24wrapped_transform_configINS0_14default_configEN3c104HalfEEES6_PS6_S8_NS0_8identityIS6_EEEEvT1_mT2_T3_.uses_vcc, 1
	.set _ZN7rocprim17ROCPRIM_304000_NS6detail16transform_kernelINS1_24wrapped_transform_configINS0_14default_configEN3c104HalfEEES6_PS6_S8_NS0_8identityIS6_EEEEvT1_mT2_T3_.uses_flat_scratch, 0
	.set _ZN7rocprim17ROCPRIM_304000_NS6detail16transform_kernelINS1_24wrapped_transform_configINS0_14default_configEN3c104HalfEEES6_PS6_S8_NS0_8identityIS6_EEEEvT1_mT2_T3_.has_dyn_sized_stack, 0
	.set _ZN7rocprim17ROCPRIM_304000_NS6detail16transform_kernelINS1_24wrapped_transform_configINS0_14default_configEN3c104HalfEEES6_PS6_S8_NS0_8identityIS6_EEEEvT1_mT2_T3_.has_recursion, 0
	.set _ZN7rocprim17ROCPRIM_304000_NS6detail16transform_kernelINS1_24wrapped_transform_configINS0_14default_configEN3c104HalfEEES6_PS6_S8_NS0_8identityIS6_EEEEvT1_mT2_T3_.has_indirect_call, 0
	.section	.AMDGPU.csdata,"",@progbits
; Kernel info:
; codeLenInByte = 460
; TotalNumSgprs: 18
; NumVgprs: 10
; NumAgprs: 0
; TotalNumVgprs: 10
; ScratchSize: 0
; MemoryBound: 0
; FloatMode: 240
; IeeeMode: 1
; LDSByteSize: 0 bytes/workgroup (compile time only)
; SGPRBlocks: 2
; VGPRBlocks: 1
; NumSGPRsForWavesPerEU: 18
; NumVGPRsForWavesPerEU: 10
; AccumOffset: 12
; Occupancy: 8
; WaveLimiterHint : 1
; COMPUTE_PGM_RSRC2:SCRATCH_EN: 0
; COMPUTE_PGM_RSRC2:USER_SGPR: 2
; COMPUTE_PGM_RSRC2:TRAP_HANDLER: 0
; COMPUTE_PGM_RSRC2:TGID_X_EN: 1
; COMPUTE_PGM_RSRC2:TGID_Y_EN: 0
; COMPUTE_PGM_RSRC2:TGID_Z_EN: 0
; COMPUTE_PGM_RSRC2:TIDIG_COMP_CNT: 0
; COMPUTE_PGM_RSRC3_GFX90A:ACCUM_OFFSET: 2
; COMPUTE_PGM_RSRC3_GFX90A:TG_SPLIT: 0
	.section	.text._ZN7rocprim17ROCPRIM_304000_NS6detail18single_scan_kernelILb0ENS1_19wrapped_scan_configINS0_14default_configEN3c104HalfEEEPKS6_PS6_St4plusIS6_ES6_S6_EEvT1_mT4_T2_T3_,"axG",@progbits,_ZN7rocprim17ROCPRIM_304000_NS6detail18single_scan_kernelILb0ENS1_19wrapped_scan_configINS0_14default_configEN3c104HalfEEEPKS6_PS6_St4plusIS6_ES6_S6_EEvT1_mT4_T2_T3_,comdat
	.protected	_ZN7rocprim17ROCPRIM_304000_NS6detail18single_scan_kernelILb0ENS1_19wrapped_scan_configINS0_14default_configEN3c104HalfEEEPKS6_PS6_St4plusIS6_ES6_S6_EEvT1_mT4_T2_T3_ ; -- Begin function _ZN7rocprim17ROCPRIM_304000_NS6detail18single_scan_kernelILb0ENS1_19wrapped_scan_configINS0_14default_configEN3c104HalfEEEPKS6_PS6_St4plusIS6_ES6_S6_EEvT1_mT4_T2_T3_
	.globl	_ZN7rocprim17ROCPRIM_304000_NS6detail18single_scan_kernelILb0ENS1_19wrapped_scan_configINS0_14default_configEN3c104HalfEEEPKS6_PS6_St4plusIS6_ES6_S6_EEvT1_mT4_T2_T3_
	.p2align	8
	.type	_ZN7rocprim17ROCPRIM_304000_NS6detail18single_scan_kernelILb0ENS1_19wrapped_scan_configINS0_14default_configEN3c104HalfEEEPKS6_PS6_St4plusIS6_ES6_S6_EEvT1_mT4_T2_T3_,@function
_ZN7rocprim17ROCPRIM_304000_NS6detail18single_scan_kernelILb0ENS1_19wrapped_scan_configINS0_14default_configEN3c104HalfEEEPKS6_PS6_St4plusIS6_ES6_S6_EEvT1_mT4_T2_T3_: ; @_ZN7rocprim17ROCPRIM_304000_NS6detail18single_scan_kernelILb0ENS1_19wrapped_scan_configINS0_14default_configEN3c104HalfEEEPKS6_PS6_St4plusIS6_ES6_S6_EEvT1_mT4_T2_T3_
; %bb.0:
	s_load_dwordx4 s[24:27], s[0:1], 0x0
	v_mov_b32_e32 v3, 0
	v_lshlrev_b32_e32 v2, 1, v0
	s_waitcnt lgkmcnt(0)
	global_load_ushort v1, v3, s[24:25]
	v_lshl_add_u64 v[4:5], s[24:25], 0, v[2:3]
	v_cmp_gt_u32_e32 vcc, s26, v0
	s_waitcnt vmcnt(0)
	v_mov_b32_e32 v3, v1
	s_and_saveexec_b64 s[2:3], vcc
	s_cbranch_execz .LBB106_2
; %bb.1:
	global_load_ushort v3, v[4:5], off
.LBB106_2:
	s_or_b64 exec, exec, s[2:3]
	v_or_b32_e32 v6, 0x80, v0
	v_cmp_gt_u32_e64 s[18:19], s26, v6
	v_mov_b32_e32 v6, v1
	s_and_saveexec_b64 s[2:3], s[18:19]
	s_cbranch_execz .LBB106_4
; %bb.3:
	global_load_ushort v6, v[4:5], off offset:256
.LBB106_4:
	s_or_b64 exec, exec, s[2:3]
	v_or_b32_e32 v7, 0x100, v0
	v_cmp_gt_u32_e64 s[2:3], s26, v7
	v_mov_b32_e32 v7, v1
	s_and_saveexec_b64 s[4:5], s[2:3]
	s_cbranch_execz .LBB106_6
; %bb.5:
	global_load_ushort v7, v[4:5], off offset:512
.LBB106_6:
	;; [unrolled: 9-line block ×12, first 2 shown]
	s_or_b64 exec, exec, s[28:29]
	v_or_b32_e32 v18, 0x680, v0
	v_cmp_gt_u32_e64 s[26:27], s26, v18
	s_and_saveexec_b64 s[28:29], s[26:27]
	s_cbranch_execz .LBB106_28
; %bb.27:
	global_load_ushort v1, v[4:5], off offset:3328
.LBB106_28:
	s_or_b64 exec, exec, s[28:29]
	s_waitcnt vmcnt(0)
	ds_write_b16 v2, v3
	ds_write_b16 v2, v6 offset:256
	ds_write_b16 v2, v7 offset:512
	;; [unrolled: 1-line block ×13, first 2 shown]
	v_mad_u32_u24 v1, v0, 26, v2
	s_waitcnt lgkmcnt(0)
	s_barrier
	ds_read2_b32 v[8:9], v1 offset1:1
	ds_read2_b32 v[6:7], v1 offset0:2 offset1:3
	ds_read2_b32 v[4:5], v1 offset0:4 offset1:5
	ds_read_b32 v1, v1 offset:24
	s_waitcnt lgkmcnt(0)
	v_add_f16_sdwa v3, v8, v8 dst_sel:DWORD dst_unused:UNUSED_PAD src0_sel:DWORD src1_sel:WORD_1
	v_add_f16_e32 v3, v3, v9
	v_add_f16_sdwa v3, v3, v9 dst_sel:DWORD dst_unused:UNUSED_PAD src0_sel:DWORD src1_sel:WORD_1
	v_add_f16_e32 v3, v3, v6
	;; [unrolled: 2-line block ×6, first 2 shown]
	v_add_f16_sdwa v10, v3, v1 dst_sel:DWORD dst_unused:UNUSED_PAD src0_sel:DWORD src1_sel:WORD_1
	v_mbcnt_lo_u32_b32 v3, -1, 0
	v_mbcnt_hi_u32_b32 v3, -1, v3
	v_and_b32_e32 v11, 15, v3
	v_mov_b32_dpp v12, v10 row_shr:1 row_mask:0xf bank_mask:0xf
	v_add_f16_e32 v12, v10, v12
	v_cmp_eq_u32_e64 s[28:29], 0, v11
	s_barrier
	s_nop 0
	v_cndmask_b32_e64 v10, v12, v10, s[28:29]
	v_and_b32_e32 v12, 0xffff, v10
	v_cmp_lt_u32_e64 s[28:29], 1, v11
	s_nop 0
	v_mov_b32_dpp v12, v12 row_shr:2 row_mask:0xf bank_mask:0xf
	v_add_f16_e32 v12, v10, v12
	v_cndmask_b32_e64 v10, v10, v12, s[28:29]
	v_and_b32_e32 v12, 0xffff, v10
	v_cmp_lt_u32_e64 s[28:29], 3, v11
	s_nop 0
	v_mov_b32_dpp v12, v12 row_shr:4 row_mask:0xf bank_mask:0xf
	v_add_f16_e32 v12, v10, v12
	;; [unrolled: 6-line block ×3, first 2 shown]
	v_cndmask_b32_e64 v10, v10, v12, s[28:29]
	v_and_b32_e32 v11, 0xffff, v10
	v_and_b32_e32 v12, 16, v3
	v_cmp_eq_u32_e64 s[28:29], 0, v12
	v_mov_b32_dpp v11, v11 row_bcast:15 row_mask:0xf bank_mask:0xf
	v_add_f16_e32 v11, v10, v11
	v_cndmask_b32_e64 v10, v11, v10, s[28:29]
	v_and_b32_e32 v11, 0xffff, v10
	v_cmp_lt_u32_e64 s[28:29], 31, v3
	v_lshrrev_b32_e32 v12, 6, v0
	v_mov_b32_dpp v11, v11 row_bcast:31 row_mask:0xf bank_mask:0xf
	v_add_f16_e32 v11, v10, v11
	v_cndmask_b32_e64 v10, v10, v11, s[28:29]
	v_or_b32_e32 v11, 63, v0
	v_cmp_eq_u32_e64 s[28:29], v0, v11
	s_and_saveexec_b64 s[30:31], s[28:29]
; %bb.29:
	v_lshlrev_b32_e32 v11, 1, v12
	ds_write_b16 v11, v10
; %bb.30:
	s_or_b64 exec, exec, s[30:31]
	v_cmp_gt_u32_e64 s[28:29], 2, v0
	s_waitcnt lgkmcnt(0)
	s_barrier
	s_and_saveexec_b64 s[30:31], s[28:29]
	s_cbranch_execz .LBB106_32
; %bb.31:
	ds_read_u16 v11, v2
	v_and_b32_e32 v13, 1, v3
	v_cmp_eq_u32_e64 s[28:29], 0, v13
	s_waitcnt lgkmcnt(0)
	v_and_b32_e32 v14, 0xffff, v11
	s_nop 1
	v_mov_b32_dpp v14, v14 row_shr:1 row_mask:0xf bank_mask:0xf
	v_add_f16_e32 v14, v11, v14
	v_cndmask_b32_e64 v11, v14, v11, s[28:29]
	ds_write_b16 v2, v11
.LBB106_32:
	s_or_b64 exec, exec, s[30:31]
	v_mul_u32_u24_e32 v11, 26, v0
	v_cmp_lt_u32_e64 s[28:29], 63, v0
	s_waitcnt lgkmcnt(0)
	s_barrier
                                        ; implicit-def: $vgpr13
	s_and_saveexec_b64 s[30:31], s[28:29]
	s_cbranch_execz .LBB106_34
; %bb.33:
	v_lshl_add_u32 v12, v12, 1, -2
	ds_read_u16 v13, v12
	s_waitcnt lgkmcnt(0)
	v_add_f16_e32 v10, v10, v13
.LBB106_34:
	s_or_b64 exec, exec, s[30:31]
	v_subrev_co_u32_e64 v12, s[28:29], 1, v3
	v_and_b32_e32 v14, 64, v3
	v_cmp_lt_i32_e64 s[30:31], v12, v14
	v_and_b32_e32 v10, 0xffff, v10
	v_add_u32_e32 v11, v2, v11
	v_cndmask_b32_e64 v3, v12, v3, s[30:31]
	v_lshlrev_b32_e32 v3, 2, v3
	ds_bpermute_b32 v3, v3, v10
	s_load_dwordx2 s[30:31], s[0:1], 0x18
	v_cmp_eq_u32_e64 s[0:1], 0, v0
	s_waitcnt lgkmcnt(0)
	s_barrier
	v_cndmask_b32_e64 v3, v3, v13, s[28:29]
	v_add_f16_e32 v3, v8, v3
	v_cndmask_b32_e64 v0, v3, v8, s[0:1]
	v_add_f16_sdwa v3, v8, v0 dst_sel:DWORD dst_unused:UNUSED_PAD src0_sel:WORD_1 src1_sel:DWORD
	v_add_f16_e32 v8, v9, v3
	v_add_f16_sdwa v9, v9, v8 dst_sel:DWORD dst_unused:UNUSED_PAD src0_sel:WORD_1 src1_sel:DWORD
	v_add_f16_e32 v10, v6, v9
	;; [unrolled: 2-line block ×5, first 2 shown]
	s_mov_b32 s0, 0x5040100
	v_add_f16_sdwa v5, v5, v14 dst_sel:DWORD dst_unused:UNUSED_PAD src0_sel:WORD_1 src1_sel:DWORD
	v_perm_b32 v0, v3, v0, s0
	v_pack_b32_f16 v3, v8, v9
	v_add_f16_e32 v15, v1, v5
	ds_write2_b32 v11, v0, v3 offset1:1
	v_pack_b32_f16 v0, v10, v6
	v_pack_b32_f16 v3, v12, v7
	v_add_f16_sdwa v1, v1, v15 dst_sel:DWORD dst_unused:UNUSED_PAD src0_sel:WORD_1 src1_sel:DWORD
	ds_write2_b32 v11, v0, v3 offset0:2 offset1:3
	v_pack_b32_f16 v0, v13, v4
	v_pack_b32_f16 v3, v14, v5
	ds_write2_b32 v11, v0, v3 offset0:4 offset1:5
	v_pack_b32_f16 v0, v15, v1
	ds_write_b32 v11, v0 offset:24
	s_waitcnt lgkmcnt(0)
	s_barrier
	ds_read_u16 v16, v2 offset:256
	ds_read_u16 v15, v2 offset:512
	;; [unrolled: 1-line block ×13, first 2 shown]
	v_mov_b32_e32 v3, 0
	v_lshl_add_u64 v[0:1], s[30:31], 0, v[2:3]
	s_and_saveexec_b64 s[0:1], vcc
	s_cbranch_execnz .LBB106_49
; %bb.35:
	s_or_b64 exec, exec, s[0:1]
	s_and_saveexec_b64 s[0:1], s[18:19]
	s_cbranch_execnz .LBB106_50
.LBB106_36:
	s_or_b64 exec, exec, s[0:1]
	s_and_saveexec_b64 s[0:1], s[2:3]
	s_cbranch_execnz .LBB106_51
.LBB106_37:
	s_or_b64 exec, exec, s[0:1]
	s_and_saveexec_b64 s[0:1], s[4:5]
	s_cbranch_execnz .LBB106_52
.LBB106_38:
	s_or_b64 exec, exec, s[0:1]
	s_and_saveexec_b64 s[0:1], s[6:7]
	s_cbranch_execnz .LBB106_53
.LBB106_39:
	s_or_b64 exec, exec, s[0:1]
	s_and_saveexec_b64 s[0:1], s[8:9]
	s_cbranch_execnz .LBB106_54
.LBB106_40:
	s_or_b64 exec, exec, s[0:1]
	s_and_saveexec_b64 s[0:1], s[10:11]
	s_cbranch_execnz .LBB106_55
.LBB106_41:
	s_or_b64 exec, exec, s[0:1]
	s_and_saveexec_b64 s[0:1], s[12:13]
	s_cbranch_execnz .LBB106_56
.LBB106_42:
	s_or_b64 exec, exec, s[0:1]
	s_and_saveexec_b64 s[0:1], s[14:15]
	s_cbranch_execnz .LBB106_57
.LBB106_43:
	s_or_b64 exec, exec, s[0:1]
	s_and_saveexec_b64 s[0:1], s[16:17]
	s_cbranch_execnz .LBB106_58
.LBB106_44:
	s_or_b64 exec, exec, s[0:1]
	s_and_saveexec_b64 s[0:1], s[20:21]
	s_cbranch_execnz .LBB106_59
.LBB106_45:
	s_or_b64 exec, exec, s[0:1]
	s_and_saveexec_b64 s[0:1], s[22:23]
	s_cbranch_execnz .LBB106_60
.LBB106_46:
	s_or_b64 exec, exec, s[0:1]
	s_and_saveexec_b64 s[0:1], s[24:25]
	s_cbranch_execnz .LBB106_61
.LBB106_47:
	s_or_b64 exec, exec, s[0:1]
	s_and_saveexec_b64 s[0:1], s[26:27]
	s_cbranch_execnz .LBB106_62
.LBB106_48:
	s_endpgm
.LBB106_49:
	ds_read_u16 v2, v2
	s_waitcnt lgkmcnt(0)
	global_store_short v[0:1], v2, off
	s_or_b64 exec, exec, s[0:1]
	s_and_saveexec_b64 s[0:1], s[18:19]
	s_cbranch_execz .LBB106_36
.LBB106_50:
	s_waitcnt lgkmcnt(12)
	global_store_short v[0:1], v16, off offset:256
	s_or_b64 exec, exec, s[0:1]
	s_and_saveexec_b64 s[0:1], s[2:3]
	s_cbranch_execz .LBB106_37
.LBB106_51:
	s_waitcnt lgkmcnt(11)
	global_store_short v[0:1], v15, off offset:512
	s_or_b64 exec, exec, s[0:1]
	s_and_saveexec_b64 s[0:1], s[4:5]
	s_cbranch_execz .LBB106_38
.LBB106_52:
	s_waitcnt lgkmcnt(10)
	global_store_short v[0:1], v14, off offset:768
	s_or_b64 exec, exec, s[0:1]
	s_and_saveexec_b64 s[0:1], s[6:7]
	s_cbranch_execz .LBB106_39
.LBB106_53:
	s_waitcnt lgkmcnt(9)
	global_store_short v[0:1], v13, off offset:1024
	s_or_b64 exec, exec, s[0:1]
	s_and_saveexec_b64 s[0:1], s[8:9]
	s_cbranch_execz .LBB106_40
.LBB106_54:
	s_waitcnt lgkmcnt(8)
	global_store_short v[0:1], v12, off offset:1280
	s_or_b64 exec, exec, s[0:1]
	s_and_saveexec_b64 s[0:1], s[10:11]
	s_cbranch_execz .LBB106_41
.LBB106_55:
	s_waitcnt lgkmcnt(7)
	global_store_short v[0:1], v11, off offset:1536
	s_or_b64 exec, exec, s[0:1]
	s_and_saveexec_b64 s[0:1], s[12:13]
	s_cbranch_execz .LBB106_42
.LBB106_56:
	s_waitcnt lgkmcnt(6)
	global_store_short v[0:1], v10, off offset:1792
	s_or_b64 exec, exec, s[0:1]
	s_and_saveexec_b64 s[0:1], s[14:15]
	s_cbranch_execz .LBB106_43
.LBB106_57:
	s_waitcnt lgkmcnt(5)
	global_store_short v[0:1], v9, off offset:2048
	s_or_b64 exec, exec, s[0:1]
	s_and_saveexec_b64 s[0:1], s[16:17]
	s_cbranch_execz .LBB106_44
.LBB106_58:
	s_waitcnt lgkmcnt(4)
	global_store_short v[0:1], v8, off offset:2304
	s_or_b64 exec, exec, s[0:1]
	s_and_saveexec_b64 s[0:1], s[20:21]
	s_cbranch_execz .LBB106_45
.LBB106_59:
	s_waitcnt lgkmcnt(3)
	global_store_short v[0:1], v7, off offset:2560
	s_or_b64 exec, exec, s[0:1]
	s_and_saveexec_b64 s[0:1], s[22:23]
	s_cbranch_execz .LBB106_46
.LBB106_60:
	s_waitcnt lgkmcnt(2)
	global_store_short v[0:1], v6, off offset:2816
	s_or_b64 exec, exec, s[0:1]
	s_and_saveexec_b64 s[0:1], s[24:25]
	s_cbranch_execz .LBB106_47
.LBB106_61:
	s_waitcnt lgkmcnt(1)
	global_store_short v[0:1], v5, off offset:3072
	s_or_b64 exec, exec, s[0:1]
	s_and_saveexec_b64 s[0:1], s[26:27]
	s_cbranch_execz .LBB106_48
.LBB106_62:
	s_waitcnt lgkmcnt(0)
	global_store_short v[0:1], v4, off offset:3328
	s_endpgm
	.section	.rodata,"a",@progbits
	.p2align	6, 0x0
	.amdhsa_kernel _ZN7rocprim17ROCPRIM_304000_NS6detail18single_scan_kernelILb0ENS1_19wrapped_scan_configINS0_14default_configEN3c104HalfEEEPKS6_PS6_St4plusIS6_ES6_S6_EEvT1_mT4_T2_T3_
		.amdhsa_group_segment_fixed_size 3584
		.amdhsa_private_segment_fixed_size 0
		.amdhsa_kernarg_size 36
		.amdhsa_user_sgpr_count 2
		.amdhsa_user_sgpr_dispatch_ptr 0
		.amdhsa_user_sgpr_queue_ptr 0
		.amdhsa_user_sgpr_kernarg_segment_ptr 1
		.amdhsa_user_sgpr_dispatch_id 0
		.amdhsa_user_sgpr_kernarg_preload_length 0
		.amdhsa_user_sgpr_kernarg_preload_offset 0
		.amdhsa_user_sgpr_private_segment_size 0
		.amdhsa_uses_dynamic_stack 0
		.amdhsa_enable_private_segment 0
		.amdhsa_system_sgpr_workgroup_id_x 1
		.amdhsa_system_sgpr_workgroup_id_y 0
		.amdhsa_system_sgpr_workgroup_id_z 0
		.amdhsa_system_sgpr_workgroup_info 0
		.amdhsa_system_vgpr_workitem_id 0
		.amdhsa_next_free_vgpr 19
		.amdhsa_next_free_sgpr 32
		.amdhsa_accum_offset 20
		.amdhsa_reserve_vcc 1
		.amdhsa_float_round_mode_32 0
		.amdhsa_float_round_mode_16_64 0
		.amdhsa_float_denorm_mode_32 3
		.amdhsa_float_denorm_mode_16_64 3
		.amdhsa_dx10_clamp 1
		.amdhsa_ieee_mode 1
		.amdhsa_fp16_overflow 0
		.amdhsa_tg_split 0
		.amdhsa_exception_fp_ieee_invalid_op 0
		.amdhsa_exception_fp_denorm_src 0
		.amdhsa_exception_fp_ieee_div_zero 0
		.amdhsa_exception_fp_ieee_overflow 0
		.amdhsa_exception_fp_ieee_underflow 0
		.amdhsa_exception_fp_ieee_inexact 0
		.amdhsa_exception_int_div_zero 0
	.end_amdhsa_kernel
	.section	.text._ZN7rocprim17ROCPRIM_304000_NS6detail18single_scan_kernelILb0ENS1_19wrapped_scan_configINS0_14default_configEN3c104HalfEEEPKS6_PS6_St4plusIS6_ES6_S6_EEvT1_mT4_T2_T3_,"axG",@progbits,_ZN7rocprim17ROCPRIM_304000_NS6detail18single_scan_kernelILb0ENS1_19wrapped_scan_configINS0_14default_configEN3c104HalfEEEPKS6_PS6_St4plusIS6_ES6_S6_EEvT1_mT4_T2_T3_,comdat
.Lfunc_end106:
	.size	_ZN7rocprim17ROCPRIM_304000_NS6detail18single_scan_kernelILb0ENS1_19wrapped_scan_configINS0_14default_configEN3c104HalfEEEPKS6_PS6_St4plusIS6_ES6_S6_EEvT1_mT4_T2_T3_, .Lfunc_end106-_ZN7rocprim17ROCPRIM_304000_NS6detail18single_scan_kernelILb0ENS1_19wrapped_scan_configINS0_14default_configEN3c104HalfEEEPKS6_PS6_St4plusIS6_ES6_S6_EEvT1_mT4_T2_T3_
                                        ; -- End function
	.set _ZN7rocprim17ROCPRIM_304000_NS6detail18single_scan_kernelILb0ENS1_19wrapped_scan_configINS0_14default_configEN3c104HalfEEEPKS6_PS6_St4plusIS6_ES6_S6_EEvT1_mT4_T2_T3_.num_vgpr, 19
	.set _ZN7rocprim17ROCPRIM_304000_NS6detail18single_scan_kernelILb0ENS1_19wrapped_scan_configINS0_14default_configEN3c104HalfEEEPKS6_PS6_St4plusIS6_ES6_S6_EEvT1_mT4_T2_T3_.num_agpr, 0
	.set _ZN7rocprim17ROCPRIM_304000_NS6detail18single_scan_kernelILb0ENS1_19wrapped_scan_configINS0_14default_configEN3c104HalfEEEPKS6_PS6_St4plusIS6_ES6_S6_EEvT1_mT4_T2_T3_.numbered_sgpr, 32
	.set _ZN7rocprim17ROCPRIM_304000_NS6detail18single_scan_kernelILb0ENS1_19wrapped_scan_configINS0_14default_configEN3c104HalfEEEPKS6_PS6_St4plusIS6_ES6_S6_EEvT1_mT4_T2_T3_.num_named_barrier, 0
	.set _ZN7rocprim17ROCPRIM_304000_NS6detail18single_scan_kernelILb0ENS1_19wrapped_scan_configINS0_14default_configEN3c104HalfEEEPKS6_PS6_St4plusIS6_ES6_S6_EEvT1_mT4_T2_T3_.private_seg_size, 0
	.set _ZN7rocprim17ROCPRIM_304000_NS6detail18single_scan_kernelILb0ENS1_19wrapped_scan_configINS0_14default_configEN3c104HalfEEEPKS6_PS6_St4plusIS6_ES6_S6_EEvT1_mT4_T2_T3_.uses_vcc, 1
	.set _ZN7rocprim17ROCPRIM_304000_NS6detail18single_scan_kernelILb0ENS1_19wrapped_scan_configINS0_14default_configEN3c104HalfEEEPKS6_PS6_St4plusIS6_ES6_S6_EEvT1_mT4_T2_T3_.uses_flat_scratch, 0
	.set _ZN7rocprim17ROCPRIM_304000_NS6detail18single_scan_kernelILb0ENS1_19wrapped_scan_configINS0_14default_configEN3c104HalfEEEPKS6_PS6_St4plusIS6_ES6_S6_EEvT1_mT4_T2_T3_.has_dyn_sized_stack, 0
	.set _ZN7rocprim17ROCPRIM_304000_NS6detail18single_scan_kernelILb0ENS1_19wrapped_scan_configINS0_14default_configEN3c104HalfEEEPKS6_PS6_St4plusIS6_ES6_S6_EEvT1_mT4_T2_T3_.has_recursion, 0
	.set _ZN7rocprim17ROCPRIM_304000_NS6detail18single_scan_kernelILb0ENS1_19wrapped_scan_configINS0_14default_configEN3c104HalfEEEPKS6_PS6_St4plusIS6_ES6_S6_EEvT1_mT4_T2_T3_.has_indirect_call, 0
	.section	.AMDGPU.csdata,"",@progbits
; Kernel info:
; codeLenInByte = 2168
; TotalNumSgprs: 38
; NumVgprs: 19
; NumAgprs: 0
; TotalNumVgprs: 19
; ScratchSize: 0
; MemoryBound: 0
; FloatMode: 240
; IeeeMode: 1
; LDSByteSize: 3584 bytes/workgroup (compile time only)
; SGPRBlocks: 4
; VGPRBlocks: 2
; NumSGPRsForWavesPerEU: 38
; NumVGPRsForWavesPerEU: 19
; AccumOffset: 20
; Occupancy: 8
; WaveLimiterHint : 0
; COMPUTE_PGM_RSRC2:SCRATCH_EN: 0
; COMPUTE_PGM_RSRC2:USER_SGPR: 2
; COMPUTE_PGM_RSRC2:TRAP_HANDLER: 0
; COMPUTE_PGM_RSRC2:TGID_X_EN: 1
; COMPUTE_PGM_RSRC2:TGID_Y_EN: 0
; COMPUTE_PGM_RSRC2:TGID_Z_EN: 0
; COMPUTE_PGM_RSRC2:TIDIG_COMP_CNT: 0
; COMPUTE_PGM_RSRC3_GFX90A:ACCUM_OFFSET: 4
; COMPUTE_PGM_RSRC3_GFX90A:TG_SPLIT: 0
	.section	.text._ZN2at6native32tensor_kernel_scan_innermost_dimIN3c104HalfESt4plusIS3_EEEvPT_PKS6_jjjS6_T0_,"axG",@progbits,_ZN2at6native32tensor_kernel_scan_innermost_dimIN3c104HalfESt4plusIS3_EEEvPT_PKS6_jjjS6_T0_,comdat
	.protected	_ZN2at6native32tensor_kernel_scan_innermost_dimIN3c104HalfESt4plusIS3_EEEvPT_PKS6_jjjS6_T0_ ; -- Begin function _ZN2at6native32tensor_kernel_scan_innermost_dimIN3c104HalfESt4plusIS3_EEEvPT_PKS6_jjjS6_T0_
	.globl	_ZN2at6native32tensor_kernel_scan_innermost_dimIN3c104HalfESt4plusIS3_EEEvPT_PKS6_jjjS6_T0_
	.p2align	8
	.type	_ZN2at6native32tensor_kernel_scan_innermost_dimIN3c104HalfESt4plusIS3_EEEvPT_PKS6_jjjS6_T0_,@function
_ZN2at6native32tensor_kernel_scan_innermost_dimIN3c104HalfESt4plusIS3_EEEvPT_PKS6_jjjS6_T0_: ; @_ZN2at6native32tensor_kernel_scan_innermost_dimIN3c104HalfESt4plusIS3_EEEvPT_PKS6_jjjS6_T0_
; %bb.0:
	s_load_dwordx8 s[12:19], s[0:1], 0x0
	v_bfe_u32 v2, v0, 10, 10
	s_waitcnt lgkmcnt(0)
	s_lshl_b32 s3, 2, s18
	s_mul_hi_u32 s4, s16, s17
	v_mul_lo_u32 v1, s3, v2
	v_lshl_add_u32 v18, v1, 1, 0
	s_cmp_lg_u32 s4, 0
	s_mov_b64 s[4:5], -1
	s_cbranch_scc1 .LBB107_26
; %bb.1:
	s_load_dword s6, s[0:1], 0x2c
	s_add_u32 s4, s0, 32
	s_addc_u32 s5, s1, 0
	s_waitcnt lgkmcnt(0)
	s_lshr_b32 s6, s6, 16
	s_mul_i32 s24, s2, s6
	s_cmp_ge_u32 s24, s16
	s_cbranch_scc1 .LBB107_25
; %bb.2:
	s_load_dword s26, s[4:5], 0x0
	s_lshl_b32 s25, 1, s18
	s_cmp_lg_u32 s17, 0
	s_cselect_b64 s[10:11], -1, 0
	v_and_b32_e32 v1, 0x3ff, v0
	v_lshl_add_u32 v3, v1, 1, v18
	s_lshl_b32 s4, s3, 1
	v_cndmask_b32_e64 v4, 0, 1, s[10:11]
	v_lshl_add_u32 v12, s25, 1, v3
	v_cmp_eq_u32_e64 s[8:9], 0, v1
	v_add3_u32 v13, v18, s4, -2
	s_waitcnt lgkmcnt(0)
	s_mul_i32 s26, s26, s6
	s_add_i32 s27, s18, 1
	v_cmp_ne_u32_e64 s[4:5], 1, v4
	v_mov_b32_e32 v5, 0
	s_branch .LBB107_4
.LBB107_3:                              ;   in Loop: Header=BB107_4 Depth=1
	s_add_i32 s24, s24, s26
	s_cmp_ge_u32 s24, s16
	s_cbranch_scc1 .LBB107_25
.LBB107_4:                              ; =>This Loop Header: Depth=1
                                        ;     Child Loop BB107_7 Depth 2
                                        ;       Child Loop BB107_16 Depth 3
	s_and_b64 vcc, exec, s[4:5]
	s_cbranch_vccnz .LBB107_3
; %bb.5:                                ;   in Loop: Header=BB107_4 Depth=1
	v_add_u32_e32 v10, s24, v2
	v_mul_lo_u32 v4, v10, s17
	v_lshlrev_b64 v[8:9], 1, v[4:5]
	v_lshl_add_u64 v[6:7], s[14:15], 0, v[8:9]
	v_lshl_add_u64 v[8:9], s[12:13], 0, v[8:9]
	v_cmp_gt_u32_e32 vcc, s16, v10
	v_cmp_le_u32_e64 s[6:7], s16, v10
	s_mov_b32 s28, 0
	v_mov_b32_e32 v14, s19
	s_branch .LBB107_7
.LBB107_6:                              ;   in Loop: Header=BB107_7 Depth=2
	s_or_b64 exec, exec, s[20:21]
	ds_read_u16 v14, v13
	s_add_i32 s28, s28, s3
	s_cmp_ge_u32 s28, s17
	s_waitcnt lgkmcnt(0)
	s_barrier
	s_cbranch_scc1 .LBB107_3
.LBB107_7:                              ;   Parent Loop BB107_4 Depth=1
                                        ; =>  This Loop Header: Depth=2
                                        ;       Child Loop BB107_16 Depth 3
	v_add_u32_e32 v4, s28, v1
	v_add_u32_e32 v10, s25, v4
	s_and_saveexec_b64 s[20:21], vcc
	s_cbranch_execz .LBB107_14
; %bb.8:                                ;   in Loop: Header=BB107_7 Depth=2
	v_cmp_gt_u32_e64 s[10:11], s17, v4
	v_mov_b32_e32 v11, s19
	s_and_saveexec_b64 s[22:23], s[10:11]
	s_cbranch_execz .LBB107_10
; %bb.9:                                ;   in Loop: Header=BB107_7 Depth=2
	v_lshl_add_u64 v[16:17], v[4:5], 1, v[6:7]
	global_load_ushort v11, v[16:17], off
.LBB107_10:                             ;   in Loop: Header=BB107_7 Depth=2
	s_or_b64 exec, exec, s[22:23]
	s_waitcnt vmcnt(0)
	ds_write_b16 v3, v11
	v_cmp_gt_u32_e64 s[10:11], s17, v10
	v_mov_b32_e32 v11, s19
	s_and_saveexec_b64 s[22:23], s[10:11]
	s_cbranch_execz .LBB107_12
; %bb.11:                               ;   in Loop: Header=BB107_7 Depth=2
	v_mov_b32_e32 v11, v5
	v_lshl_add_u64 v[16:17], v[10:11], 1, v[6:7]
	global_load_ushort v11, v[16:17], off
.LBB107_12:                             ;   in Loop: Header=BB107_7 Depth=2
	s_or_b64 exec, exec, s[22:23]
	s_waitcnt vmcnt(0)
	ds_write_b16 v12, v11
	s_and_b64 exec, exec, s[8:9]
	s_cbranch_execz .LBB107_14
; %bb.13:                               ;   in Loop: Header=BB107_7 Depth=2
	ds_read_u16 v11, v18
	s_waitcnt lgkmcnt(0)
	v_add_f16_e32 v11, v11, v14
	ds_write_b16 v18, v11
.LBB107_14:                             ;   in Loop: Header=BB107_7 Depth=2
	s_or_b64 exec, exec, s[20:21]
	v_mov_b32_e32 v11, 0
	s_mov_b64 s[20:21], 0
	s_waitcnt lgkmcnt(0)
	s_barrier
	s_branch .LBB107_16
.LBB107_15:                             ;   in Loop: Header=BB107_16 Depth=3
	s_or_b64 exec, exec, s[10:11]
	v_cmp_eq_u32_e64 s[10:11], s27, v11
	s_or_b64 s[20:21], s[10:11], s[20:21]
	s_waitcnt lgkmcnt(0)
	s_barrier
	s_andn2_b64 exec, exec, s[20:21]
	s_cbranch_execz .LBB107_20
.LBB107_16:                             ;   Parent Loop BB107_4 Depth=1
                                        ;     Parent Loop BB107_7 Depth=2
                                        ; =>    This Inner Loop Header: Depth=3
	v_add_u32_e32 v14, 1, v11
	s_and_saveexec_b64 s[10:11], s[6:7]
	s_xor_b64 s[10:11], exec, s[10:11]
; %bb.17:                               ;   in Loop: Header=BB107_16 Depth=3
	v_add_u32_e32 v11, 1, v11
                                        ; implicit-def: $vgpr14
; %bb.18:                               ;   in Loop: Header=BB107_16 Depth=3
	s_andn2_saveexec_b64 s[10:11], s[10:11]
	s_cbranch_execz .LBB107_15
; %bb.19:                               ;   in Loop: Header=BB107_16 Depth=3
	v_lshlrev_b32_e64 v15, v11, 1
	v_lshrrev_b32_e32 v16, v11, v1
	v_lshl_or_b32 v15, v16, v14, v15
	v_bfm_b32 v11, v11, 0
	v_and_b32_e32 v11, v11, v1
	v_lshl_add_u32 v15, v15, 1, v18
	v_lshl_add_u32 v11, v11, 1, v15
	v_add_u32_e32 v15, -2, v15
	ds_read_u16 v16, v11
	ds_read_u16 v15, v15
	s_waitcnt lgkmcnt(0)
	v_add_f16_e32 v15, v16, v15
	ds_write_b16 v11, v15
	v_mov_b32_e32 v11, v14
	s_branch .LBB107_15
.LBB107_20:                             ;   in Loop: Header=BB107_7 Depth=2
	s_or_b64 exec, exec, s[20:21]
	s_and_saveexec_b64 s[20:21], vcc
	s_cbranch_execz .LBB107_6
; %bb.21:                               ;   in Loop: Header=BB107_7 Depth=2
	v_cmp_gt_u32_e64 s[10:11], s17, v4
	s_and_saveexec_b64 s[22:23], s[10:11]
	s_cbranch_execz .LBB107_23
; %bb.22:                               ;   in Loop: Header=BB107_7 Depth=2
	ds_read_u16 v11, v3
	v_lshl_add_u64 v[14:15], v[4:5], 1, v[8:9]
	s_waitcnt lgkmcnt(0)
	global_store_short v[14:15], v11, off
.LBB107_23:                             ;   in Loop: Header=BB107_7 Depth=2
	s_or_b64 exec, exec, s[22:23]
	v_cmp_gt_u32_e64 s[10:11], s17, v10
	s_and_b64 exec, exec, s[10:11]
	s_cbranch_execz .LBB107_6
; %bb.24:                               ;   in Loop: Header=BB107_7 Depth=2
	ds_read_u16 v4, v12
	v_mov_b32_e32 v11, v5
	v_lshl_add_u64 v[10:11], v[10:11], 1, v[8:9]
	s_waitcnt lgkmcnt(0)
	global_store_short v[10:11], v4, off
	s_branch .LBB107_6
.LBB107_25:
	s_mov_b64 s[4:5], 0
.LBB107_26:
	s_andn2_b64 vcc, exec, s[4:5]
	s_cbranch_vccnz .LBB107_53
; %bb.27:
	s_load_dword s3, s[0:1], 0x2c
	s_add_u32 s0, s0, 32
	s_mov_b32 s9, 0
	s_addc_u32 s1, s1, 0
	s_mov_b32 s8, s16
	s_waitcnt lgkmcnt(0)
	s_lshr_b32 s3, s3, 16
	s_mul_hi_u32 s11, s3, s2
	s_mul_i32 s10, s3, s2
	v_mov_b64_e32 v[4:5], s[8:9]
	v_cmp_ge_u64_e32 vcc, s[10:11], v[4:5]
	s_cbranch_vccnz .LBB107_53
; %bb.28:
	s_lshl_b32 s20, 1, s18
	s_load_dword s5, s[0:1], 0x0
	s_and_b32 s4, 0xffff, s3
	s_ashr_i32 s21, s20, 31
	s_cmp_lg_u32 s17, 0
	s_mov_b32 s22, s17
	s_cselect_b64 s[2:3], -1, 0
	v_and_b32_e32 v0, 0x3ff, v0
	s_lshl_b64 s[16:17], s[20:21], 1
	v_mov_b32_e32 v3, 0
	v_lshl_add_u32 v19, v0, 1, v18
	s_lshl_b32 s6, s16, 1
	v_cndmask_b32_e64 v4, 0, 1, s[2:3]
	s_mov_b32 s23, s9
	v_mov_b32_e32 v1, v3
	v_lshl_add_u32 v20, s20, 1, v19
	v_cmp_eq_u32_e64 s[0:1], 0, v0
	v_add3_u32 v21, v18, s6, -2
	s_waitcnt lgkmcnt(0)
	s_mul_i32 s33, s5, s4
	s_add_i32 s18, s18, 1
	v_cmp_ne_u32_e64 s[2:3], 1, v4
	v_mov_b64_e32 v[4:5], s[8:9]
	s_branch .LBB107_30
.LBB107_29:                             ;   in Loop: Header=BB107_30 Depth=1
	s_add_u32 s10, s10, s33
	s_addc_u32 s11, s11, 0
	v_cmp_ge_u64_e32 vcc, s[10:11], v[4:5]
	s_cbranch_vccnz .LBB107_53
.LBB107_30:                             ; =>This Loop Header: Depth=1
                                        ;     Child Loop BB107_33 Depth 2
                                        ;       Child Loop BB107_43 Depth 3
	s_and_b64 vcc, exec, s[2:3]
	s_cbranch_vccnz .LBB107_29
; %bb.31:                               ;   in Loop: Header=BB107_30 Depth=1
	v_lshl_add_u64 v[10:11], s[10:11], 0, v[2:3]
	v_mad_u64_u32 v[6:7], s[4:5], v10, s22, 0
	v_mov_b32_e32 v8, v7
	v_mad_u64_u32 v[8:9], s[4:5], v11, s22, v[8:9]
	v_mov_b32_e32 v7, v8
	v_lshlrev_b64 v[8:9], 1, v[6:7]
	v_lshl_add_u64 v[6:7], s[14:15], 0, v[8:9]
	v_lshl_add_u64 v[8:9], s[12:13], 0, v[8:9]
	v_cmp_gt_u64_e64 s[4:5], s[8:9], v[10:11]
	v_cmp_le_u64_e64 s[6:7], s[8:9], v[10:11]
	s_mov_b64 s[24:25], 0
	v_mov_b32_e32 v14, s19
	s_branch .LBB107_33
.LBB107_32:                             ;   in Loop: Header=BB107_33 Depth=2
	s_or_b64 exec, exec, s[26:27]
	ds_read_u16 v14, v21
	s_add_u32 s24, s24, s16
	s_addc_u32 s25, s25, s17
	v_mov_b64_e32 v[10:11], s[22:23]
	v_cmp_ge_u64_e32 vcc, s[24:25], v[10:11]
	s_waitcnt lgkmcnt(0)
	s_barrier
	s_cbranch_vccnz .LBB107_29
.LBB107_33:                             ;   Parent Loop BB107_30 Depth=1
                                        ; =>  This Loop Header: Depth=2
                                        ;       Child Loop BB107_43 Depth 3
	v_lshl_add_u64 v[12:13], s[24:25], 0, v[0:1]
	v_lshl_add_u64 v[10:11], v[12:13], 0, s[20:21]
	s_and_saveexec_b64 s[26:27], s[4:5]
	s_cbranch_execz .LBB107_40
; %bb.34:                               ;   in Loop: Header=BB107_33 Depth=2
	v_cmp_gt_u64_e32 vcc, s[22:23], v[12:13]
	v_mov_b32_e32 v15, s19
	s_and_saveexec_b64 s[28:29], vcc
	s_cbranch_execz .LBB107_36
; %bb.35:                               ;   in Loop: Header=BB107_33 Depth=2
	v_lshl_add_u64 v[16:17], v[12:13], 1, v[6:7]
	global_load_ushort v15, v[16:17], off
.LBB107_36:                             ;   in Loop: Header=BB107_33 Depth=2
	s_or_b64 exec, exec, s[28:29]
	s_waitcnt vmcnt(0)
	ds_write_b16 v19, v15
	v_cmp_gt_u64_e32 vcc, s[22:23], v[10:11]
	v_mov_b32_e32 v15, s19
	s_and_saveexec_b64 s[28:29], vcc
	s_cbranch_execz .LBB107_38
; %bb.37:                               ;   in Loop: Header=BB107_33 Depth=2
	v_lshl_add_u64 v[16:17], v[10:11], 1, v[6:7]
	global_load_ushort v15, v[16:17], off
.LBB107_38:                             ;   in Loop: Header=BB107_33 Depth=2
	s_or_b64 exec, exec, s[28:29]
	s_waitcnt vmcnt(0)
	ds_write_b16 v20, v15
	s_and_b64 exec, exec, s[0:1]
	s_cbranch_execz .LBB107_40
; %bb.39:                               ;   in Loop: Header=BB107_33 Depth=2
	ds_read_u16 v15, v18
	s_waitcnt lgkmcnt(0)
	v_add_f16_e32 v14, v15, v14
	ds_write_b16 v18, v14
.LBB107_40:                             ;   in Loop: Header=BB107_33 Depth=2
	s_or_b64 exec, exec, s[26:27]
	v_mov_b32_e32 v23, 0
	s_mov_b64 s[26:27], 0
	s_waitcnt lgkmcnt(0)
	s_barrier
	s_branch .LBB107_43
.LBB107_41:                             ;   in Loop: Header=BB107_43 Depth=3
	s_or_b64 exec, exec, s[30:31]
	v_lshrrev_b32_e32 v15, v23, v0
	v_lshl_or_b32 v14, v15, v22, v14
	v_lshl_add_u32 v14, v14, 1, v18
	v_lshl_add_u32 v15, v16, 1, v14
	v_add_u32_e32 v14, -2, v14
	ds_read_u16 v16, v15
	ds_read_u16 v14, v14
	s_waitcnt lgkmcnt(0)
	v_add_f16_e32 v14, v16, v14
	ds_write_b16 v15, v14
.LBB107_42:                             ;   in Loop: Header=BB107_43 Depth=3
	s_or_b64 exec, exec, s[28:29]
	v_cmp_eq_u32_e32 vcc, s18, v22
	s_or_b64 s[26:27], vcc, s[26:27]
	v_mov_b32_e32 v23, v22
	s_waitcnt lgkmcnt(0)
	s_barrier
	s_andn2_b64 exec, exec, s[26:27]
	s_cbranch_execz .LBB107_48
.LBB107_43:                             ;   Parent Loop BB107_30 Depth=1
                                        ;     Parent Loop BB107_33 Depth=2
                                        ; =>    This Inner Loop Header: Depth=3
	v_add_u32_e32 v22, 1, v23
	s_and_saveexec_b64 s[28:29], s[6:7]
	s_xor_b64 s[28:29], exec, s[28:29]
; %bb.44:                               ;   in Loop: Header=BB107_43 Depth=3
	v_add_u32_e32 v22, 1, v23
                                        ; implicit-def: $vgpr23
; %bb.45:                               ;   in Loop: Header=BB107_43 Depth=3
	s_andn2_saveexec_b64 s[28:29], s[28:29]
	s_cbranch_execz .LBB107_42
; %bb.46:                               ;   in Loop: Header=BB107_43 Depth=3
	v_lshlrev_b32_e64 v14, v23, 1
	v_ashrrev_i32_e32 v15, 31, v14
	v_cmp_ge_u64_e32 vcc, v[0:1], v[14:15]
	v_mov_b64_e32 v[16:17], v[0:1]
	s_and_saveexec_b64 s[30:31], vcc
	s_cbranch_execz .LBB107_41
; %bb.47:                               ;   in Loop: Header=BB107_43 Depth=3
	v_cvt_f32_u32_e32 v15, v14
	v_sub_u32_e32 v16, 0, v14
	v_rcp_iflag_f32_e32 v15, v15
	s_nop 0
	v_mul_f32_e32 v15, 0x4f7ffffe, v15
	v_cvt_u32_f32_e32 v15, v15
	v_mul_lo_u32 v16, v16, v15
	v_mul_hi_u32 v16, v15, v16
	v_add_u32_e32 v15, v15, v16
	v_mul_hi_u32 v15, v0, v15
	v_mul_lo_u32 v15, v15, v14
	v_sub_u32_e32 v15, v0, v15
	v_sub_u32_e32 v16, v15, v14
	v_cmp_ge_u32_e32 vcc, v15, v14
	s_nop 1
	v_cndmask_b32_e32 v15, v15, v16, vcc
	v_sub_u32_e32 v16, v15, v14
	v_cmp_ge_u32_e32 vcc, v15, v14
	s_nop 1
	v_cndmask_b32_e32 v16, v15, v16, vcc
	s_branch .LBB107_41
.LBB107_48:                             ;   in Loop: Header=BB107_33 Depth=2
	s_or_b64 exec, exec, s[26:27]
	s_and_saveexec_b64 s[26:27], s[4:5]
	s_cbranch_execz .LBB107_32
; %bb.49:                               ;   in Loop: Header=BB107_33 Depth=2
	v_cmp_gt_u64_e32 vcc, s[22:23], v[12:13]
	s_and_saveexec_b64 s[28:29], vcc
	s_cbranch_execz .LBB107_51
; %bb.50:                               ;   in Loop: Header=BB107_33 Depth=2
	ds_read_u16 v14, v19
	v_lshl_add_u64 v[12:13], v[12:13], 1, v[8:9]
	s_waitcnt lgkmcnt(0)
	global_store_short v[12:13], v14, off
.LBB107_51:                             ;   in Loop: Header=BB107_33 Depth=2
	s_or_b64 exec, exec, s[28:29]
	v_cmp_gt_u64_e32 vcc, s[22:23], v[10:11]
	s_and_b64 exec, exec, vcc
	s_cbranch_execz .LBB107_32
; %bb.52:                               ;   in Loop: Header=BB107_33 Depth=2
	ds_read_u16 v12, v20
	v_lshl_add_u64 v[10:11], v[10:11], 1, v[8:9]
	s_waitcnt lgkmcnt(0)
	global_store_short v[10:11], v12, off
	s_branch .LBB107_32
.LBB107_53:
	s_endpgm
	.section	.rodata,"a",@progbits
	.p2align	6, 0x0
	.amdhsa_kernel _ZN2at6native32tensor_kernel_scan_innermost_dimIN3c104HalfESt4plusIS3_EEEvPT_PKS6_jjjS6_T0_
		.amdhsa_group_segment_fixed_size 0
		.amdhsa_private_segment_fixed_size 0
		.amdhsa_kernarg_size 288
		.amdhsa_user_sgpr_count 2
		.amdhsa_user_sgpr_dispatch_ptr 0
		.amdhsa_user_sgpr_queue_ptr 0
		.amdhsa_user_sgpr_kernarg_segment_ptr 1
		.amdhsa_user_sgpr_dispatch_id 0
		.amdhsa_user_sgpr_kernarg_preload_length 0
		.amdhsa_user_sgpr_kernarg_preload_offset 0
		.amdhsa_user_sgpr_private_segment_size 0
		.amdhsa_uses_dynamic_stack 0
		.amdhsa_enable_private_segment 0
		.amdhsa_system_sgpr_workgroup_id_x 1
		.amdhsa_system_sgpr_workgroup_id_y 0
		.amdhsa_system_sgpr_workgroup_id_z 0
		.amdhsa_system_sgpr_workgroup_info 0
		.amdhsa_system_vgpr_workitem_id 1
		.amdhsa_next_free_vgpr 24
		.amdhsa_next_free_sgpr 34
		.amdhsa_accum_offset 24
		.amdhsa_reserve_vcc 1
		.amdhsa_float_round_mode_32 0
		.amdhsa_float_round_mode_16_64 0
		.amdhsa_float_denorm_mode_32 3
		.amdhsa_float_denorm_mode_16_64 3
		.amdhsa_dx10_clamp 1
		.amdhsa_ieee_mode 1
		.amdhsa_fp16_overflow 0
		.amdhsa_tg_split 0
		.amdhsa_exception_fp_ieee_invalid_op 0
		.amdhsa_exception_fp_denorm_src 0
		.amdhsa_exception_fp_ieee_div_zero 0
		.amdhsa_exception_fp_ieee_overflow 0
		.amdhsa_exception_fp_ieee_underflow 0
		.amdhsa_exception_fp_ieee_inexact 0
		.amdhsa_exception_int_div_zero 0
	.end_amdhsa_kernel
	.section	.text._ZN2at6native32tensor_kernel_scan_innermost_dimIN3c104HalfESt4plusIS3_EEEvPT_PKS6_jjjS6_T0_,"axG",@progbits,_ZN2at6native32tensor_kernel_scan_innermost_dimIN3c104HalfESt4plusIS3_EEEvPT_PKS6_jjjS6_T0_,comdat
.Lfunc_end107:
	.size	_ZN2at6native32tensor_kernel_scan_innermost_dimIN3c104HalfESt4plusIS3_EEEvPT_PKS6_jjjS6_T0_, .Lfunc_end107-_ZN2at6native32tensor_kernel_scan_innermost_dimIN3c104HalfESt4plusIS3_EEEvPT_PKS6_jjjS6_T0_
                                        ; -- End function
	.set _ZN2at6native32tensor_kernel_scan_innermost_dimIN3c104HalfESt4plusIS3_EEEvPT_PKS6_jjjS6_T0_.num_vgpr, 24
	.set _ZN2at6native32tensor_kernel_scan_innermost_dimIN3c104HalfESt4plusIS3_EEEvPT_PKS6_jjjS6_T0_.num_agpr, 0
	.set _ZN2at6native32tensor_kernel_scan_innermost_dimIN3c104HalfESt4plusIS3_EEEvPT_PKS6_jjjS6_T0_.numbered_sgpr, 34
	.set _ZN2at6native32tensor_kernel_scan_innermost_dimIN3c104HalfESt4plusIS3_EEEvPT_PKS6_jjjS6_T0_.num_named_barrier, 0
	.set _ZN2at6native32tensor_kernel_scan_innermost_dimIN3c104HalfESt4plusIS3_EEEvPT_PKS6_jjjS6_T0_.private_seg_size, 0
	.set _ZN2at6native32tensor_kernel_scan_innermost_dimIN3c104HalfESt4plusIS3_EEEvPT_PKS6_jjjS6_T0_.uses_vcc, 1
	.set _ZN2at6native32tensor_kernel_scan_innermost_dimIN3c104HalfESt4plusIS3_EEEvPT_PKS6_jjjS6_T0_.uses_flat_scratch, 0
	.set _ZN2at6native32tensor_kernel_scan_innermost_dimIN3c104HalfESt4plusIS3_EEEvPT_PKS6_jjjS6_T0_.has_dyn_sized_stack, 0
	.set _ZN2at6native32tensor_kernel_scan_innermost_dimIN3c104HalfESt4plusIS3_EEEvPT_PKS6_jjjS6_T0_.has_recursion, 0
	.set _ZN2at6native32tensor_kernel_scan_innermost_dimIN3c104HalfESt4plusIS3_EEEvPT_PKS6_jjjS6_T0_.has_indirect_call, 0
	.section	.AMDGPU.csdata,"",@progbits
; Kernel info:
; codeLenInByte = 1624
; TotalNumSgprs: 40
; NumVgprs: 24
; NumAgprs: 0
; TotalNumVgprs: 24
; ScratchSize: 0
; MemoryBound: 0
; FloatMode: 240
; IeeeMode: 1
; LDSByteSize: 0 bytes/workgroup (compile time only)
; SGPRBlocks: 4
; VGPRBlocks: 2
; NumSGPRsForWavesPerEU: 40
; NumVGPRsForWavesPerEU: 24
; AccumOffset: 24
; Occupancy: 8
; WaveLimiterHint : 0
; COMPUTE_PGM_RSRC2:SCRATCH_EN: 0
; COMPUTE_PGM_RSRC2:USER_SGPR: 2
; COMPUTE_PGM_RSRC2:TRAP_HANDLER: 0
; COMPUTE_PGM_RSRC2:TGID_X_EN: 1
; COMPUTE_PGM_RSRC2:TGID_Y_EN: 0
; COMPUTE_PGM_RSRC2:TGID_Z_EN: 0
; COMPUTE_PGM_RSRC2:TIDIG_COMP_CNT: 1
; COMPUTE_PGM_RSRC3_GFX90A:ACCUM_OFFSET: 5
; COMPUTE_PGM_RSRC3_GFX90A:TG_SPLIT: 0
	.section	.text._ZN2at6native28tensor_kernel_scan_outer_dimIN3c104HalfEjSt4plusIS3_EEEvPT_PKS6_jjjS6_T1_,"axG",@progbits,_ZN2at6native28tensor_kernel_scan_outer_dimIN3c104HalfEjSt4plusIS3_EEEvPT_PKS6_jjjS6_T1_,comdat
	.protected	_ZN2at6native28tensor_kernel_scan_outer_dimIN3c104HalfEjSt4plusIS3_EEEvPT_PKS6_jjjS6_T1_ ; -- Begin function _ZN2at6native28tensor_kernel_scan_outer_dimIN3c104HalfEjSt4plusIS3_EEEvPT_PKS6_jjjS6_T1_
	.globl	_ZN2at6native28tensor_kernel_scan_outer_dimIN3c104HalfEjSt4plusIS3_EEEvPT_PKS6_jjjS6_T1_
	.p2align	8
	.type	_ZN2at6native28tensor_kernel_scan_outer_dimIN3c104HalfEjSt4plusIS3_EEEvPT_PKS6_jjjS6_T1_,@function
_ZN2at6native28tensor_kernel_scan_outer_dimIN3c104HalfEjSt4plusIS3_EEEvPT_PKS6_jjjS6_T1_: ; @_ZN2at6native28tensor_kernel_scan_outer_dimIN3c104HalfEjSt4plusIS3_EEEvPT_PKS6_jjjS6_T1_
; %bb.0:
	s_load_dwordx4 s[8:11], s[0:1], 0x10
	s_waitcnt lgkmcnt(0)
	s_cmp_ge_u32 s2, s8
	s_cbranch_scc1 .LBB108_9
; %bb.1:
	s_load_dword s4, s[0:1], 0x2c
	s_load_dwordx4 s[12:15], s[0:1], 0x0
	s_load_dword s26, s[0:1], 0x20
	s_add_u32 s6, s0, 32
	s_addc_u32 s7, s1, 0
	s_waitcnt lgkmcnt(0)
	s_and_b32 s27, s4, 0xffff
	s_mul_i32 s3, s3, s27
	s_cmp_lg_u32 s10, 0
	v_add_u32_e32 v4, s3, v0
	s_cselect_b64 s[4:5], -1, 0
	s_mul_i32 s3, s2, s10
	s_mov_b32 s17, 0
	s_mov_b32 s16, s9
	s_mul_i32 s20, s3, s9
	s_mul_i32 s3, s26, s10
	v_cndmask_b32_e64 v0, 0, 1, s[4:5]
	v_cmp_gt_u32_e64 s[0:1], s9, v4
	s_mul_i32 s3, s3, s9
	s_lshl_b64 s[18:19], s[16:17], 1
	v_cmp_ne_u32_e64 s[4:5], 1, v0
	v_mov_b32_e32 v1, 0
	s_mov_b32 s16, s20
	s_branch .LBB108_3
.LBB108_2:                              ;   in Loop: Header=BB108_3 Depth=1
	s_or_b64 exec, exec, s[20:21]
	s_add_i32 s2, s26, s2
	s_add_i32 s16, s16, s3
	s_cmp_ge_u32 s2, s8
	s_cbranch_scc1 .LBB108_9
.LBB108_3:                              ; =>This Loop Header: Depth=1
                                        ;     Child Loop BB108_6 Depth 2
                                        ;       Child Loop BB108_8 Depth 3
	s_and_saveexec_b64 s[20:21], s[0:1]
	s_cbranch_execz .LBB108_2
; %bb.4:                                ;   in Loop: Header=BB108_3 Depth=1
	s_load_dword s28, s[6:7], 0x4
	s_lshl_b64 s[22:23], s[16:17], 1
	s_mov_b64 s[24:25], 0
	v_mov_b32_e32 v0, v4
	s_waitcnt lgkmcnt(0)
	s_mul_i32 s28, s28, s27
	s_branch .LBB108_6
.LBB108_5:                              ;   in Loop: Header=BB108_6 Depth=2
	v_add_u32_e32 v0, s28, v0
	v_cmp_le_u32_e32 vcc, s9, v0
	s_or_b64 s[24:25], vcc, s[24:25]
	s_andn2_b64 exec, exec, s[24:25]
	s_cbranch_execz .LBB108_2
.LBB108_6:                              ;   Parent Loop BB108_3 Depth=1
                                        ; =>  This Loop Header: Depth=2
                                        ;       Child Loop BB108_8 Depth 3
	s_and_b64 vcc, exec, s[4:5]
	s_cbranch_vccnz .LBB108_5
; %bb.7:                                ;   in Loop: Header=BB108_6 Depth=2
	v_lshl_add_u64 v[2:3], v[0:1], 1, s[22:23]
	v_mov_b32_e32 v5, s11
	s_mov_b32 s29, s10
.LBB108_8:                              ;   Parent Loop BB108_3 Depth=1
                                        ;     Parent Loop BB108_6 Depth=2
                                        ; =>    This Inner Loop Header: Depth=3
	v_lshl_add_u64 v[6:7], s[14:15], 0, v[2:3]
	global_load_ushort v8, v[6:7], off
	s_add_i32 s29, s29, -1
	v_lshl_add_u64 v[6:7], s[12:13], 0, v[2:3]
	v_lshl_add_u64 v[2:3], v[2:3], 0, s[18:19]
	s_cmp_eq_u32 s29, 0
	s_waitcnt vmcnt(0)
	v_add_f16_e32 v5, v5, v8
	global_store_short v[6:7], v5, off
	s_cbranch_scc0 .LBB108_8
	s_branch .LBB108_5
.LBB108_9:
	s_endpgm
	.section	.rodata,"a",@progbits
	.p2align	6, 0x0
	.amdhsa_kernel _ZN2at6native28tensor_kernel_scan_outer_dimIN3c104HalfEjSt4plusIS3_EEEvPT_PKS6_jjjS6_T1_
		.amdhsa_group_segment_fixed_size 0
		.amdhsa_private_segment_fixed_size 0
		.amdhsa_kernarg_size 288
		.amdhsa_user_sgpr_count 2
		.amdhsa_user_sgpr_dispatch_ptr 0
		.amdhsa_user_sgpr_queue_ptr 0
		.amdhsa_user_sgpr_kernarg_segment_ptr 1
		.amdhsa_user_sgpr_dispatch_id 0
		.amdhsa_user_sgpr_kernarg_preload_length 0
		.amdhsa_user_sgpr_kernarg_preload_offset 0
		.amdhsa_user_sgpr_private_segment_size 0
		.amdhsa_uses_dynamic_stack 0
		.amdhsa_enable_private_segment 0
		.amdhsa_system_sgpr_workgroup_id_x 1
		.amdhsa_system_sgpr_workgroup_id_y 1
		.amdhsa_system_sgpr_workgroup_id_z 0
		.amdhsa_system_sgpr_workgroup_info 0
		.amdhsa_system_vgpr_workitem_id 0
		.amdhsa_next_free_vgpr 9
		.amdhsa_next_free_sgpr 30
		.amdhsa_accum_offset 12
		.amdhsa_reserve_vcc 1
		.amdhsa_float_round_mode_32 0
		.amdhsa_float_round_mode_16_64 0
		.amdhsa_float_denorm_mode_32 3
		.amdhsa_float_denorm_mode_16_64 3
		.amdhsa_dx10_clamp 1
		.amdhsa_ieee_mode 1
		.amdhsa_fp16_overflow 0
		.amdhsa_tg_split 0
		.amdhsa_exception_fp_ieee_invalid_op 0
		.amdhsa_exception_fp_denorm_src 0
		.amdhsa_exception_fp_ieee_div_zero 0
		.amdhsa_exception_fp_ieee_overflow 0
		.amdhsa_exception_fp_ieee_underflow 0
		.amdhsa_exception_fp_ieee_inexact 0
		.amdhsa_exception_int_div_zero 0
	.end_amdhsa_kernel
	.section	.text._ZN2at6native28tensor_kernel_scan_outer_dimIN3c104HalfEjSt4plusIS3_EEEvPT_PKS6_jjjS6_T1_,"axG",@progbits,_ZN2at6native28tensor_kernel_scan_outer_dimIN3c104HalfEjSt4plusIS3_EEEvPT_PKS6_jjjS6_T1_,comdat
.Lfunc_end108:
	.size	_ZN2at6native28tensor_kernel_scan_outer_dimIN3c104HalfEjSt4plusIS3_EEEvPT_PKS6_jjjS6_T1_, .Lfunc_end108-_ZN2at6native28tensor_kernel_scan_outer_dimIN3c104HalfEjSt4plusIS3_EEEvPT_PKS6_jjjS6_T1_
                                        ; -- End function
	.set _ZN2at6native28tensor_kernel_scan_outer_dimIN3c104HalfEjSt4plusIS3_EEEvPT_PKS6_jjjS6_T1_.num_vgpr, 9
	.set _ZN2at6native28tensor_kernel_scan_outer_dimIN3c104HalfEjSt4plusIS3_EEEvPT_PKS6_jjjS6_T1_.num_agpr, 0
	.set _ZN2at6native28tensor_kernel_scan_outer_dimIN3c104HalfEjSt4plusIS3_EEEvPT_PKS6_jjjS6_T1_.numbered_sgpr, 30
	.set _ZN2at6native28tensor_kernel_scan_outer_dimIN3c104HalfEjSt4plusIS3_EEEvPT_PKS6_jjjS6_T1_.num_named_barrier, 0
	.set _ZN2at6native28tensor_kernel_scan_outer_dimIN3c104HalfEjSt4plusIS3_EEEvPT_PKS6_jjjS6_T1_.private_seg_size, 0
	.set _ZN2at6native28tensor_kernel_scan_outer_dimIN3c104HalfEjSt4plusIS3_EEEvPT_PKS6_jjjS6_T1_.uses_vcc, 1
	.set _ZN2at6native28tensor_kernel_scan_outer_dimIN3c104HalfEjSt4plusIS3_EEEvPT_PKS6_jjjS6_T1_.uses_flat_scratch, 0
	.set _ZN2at6native28tensor_kernel_scan_outer_dimIN3c104HalfEjSt4plusIS3_EEEvPT_PKS6_jjjS6_T1_.has_dyn_sized_stack, 0
	.set _ZN2at6native28tensor_kernel_scan_outer_dimIN3c104HalfEjSt4plusIS3_EEEvPT_PKS6_jjjS6_T1_.has_recursion, 0
	.set _ZN2at6native28tensor_kernel_scan_outer_dimIN3c104HalfEjSt4plusIS3_EEEvPT_PKS6_jjjS6_T1_.has_indirect_call, 0
	.section	.AMDGPU.csdata,"",@progbits
; Kernel info:
; codeLenInByte = 316
; TotalNumSgprs: 36
; NumVgprs: 9
; NumAgprs: 0
; TotalNumVgprs: 9
; ScratchSize: 0
; MemoryBound: 0
; FloatMode: 240
; IeeeMode: 1
; LDSByteSize: 0 bytes/workgroup (compile time only)
; SGPRBlocks: 4
; VGPRBlocks: 1
; NumSGPRsForWavesPerEU: 36
; NumVGPRsForWavesPerEU: 9
; AccumOffset: 12
; Occupancy: 8
; WaveLimiterHint : 0
; COMPUTE_PGM_RSRC2:SCRATCH_EN: 0
; COMPUTE_PGM_RSRC2:USER_SGPR: 2
; COMPUTE_PGM_RSRC2:TRAP_HANDLER: 0
; COMPUTE_PGM_RSRC2:TGID_X_EN: 1
; COMPUTE_PGM_RSRC2:TGID_Y_EN: 1
; COMPUTE_PGM_RSRC2:TGID_Z_EN: 0
; COMPUTE_PGM_RSRC2:TIDIG_COMP_CNT: 0
; COMPUTE_PGM_RSRC3_GFX90A:ACCUM_OFFSET: 2
; COMPUTE_PGM_RSRC3_GFX90A:TG_SPLIT: 0
	.section	.text._ZN2at6native28tensor_kernel_scan_outer_dimIN3c104HalfEmSt4plusIS3_EEEvPT_PKS6_jjjS6_T1_,"axG",@progbits,_ZN2at6native28tensor_kernel_scan_outer_dimIN3c104HalfEmSt4plusIS3_EEEvPT_PKS6_jjjS6_T1_,comdat
	.protected	_ZN2at6native28tensor_kernel_scan_outer_dimIN3c104HalfEmSt4plusIS3_EEEvPT_PKS6_jjjS6_T1_ ; -- Begin function _ZN2at6native28tensor_kernel_scan_outer_dimIN3c104HalfEmSt4plusIS3_EEEvPT_PKS6_jjjS6_T1_
	.globl	_ZN2at6native28tensor_kernel_scan_outer_dimIN3c104HalfEmSt4plusIS3_EEEvPT_PKS6_jjjS6_T1_
	.p2align	8
	.type	_ZN2at6native28tensor_kernel_scan_outer_dimIN3c104HalfEmSt4plusIS3_EEEvPT_PKS6_jjjS6_T1_,@function
_ZN2at6native28tensor_kernel_scan_outer_dimIN3c104HalfEmSt4plusIS3_EEEvPT_PKS6_jjjS6_T1_: ; @_ZN2at6native28tensor_kernel_scan_outer_dimIN3c104HalfEmSt4plusIS3_EEEvPT_PKS6_jjjS6_T1_
; %bb.0:
	s_load_dwordx4 s[8:11], s[0:1], 0x10
	s_waitcnt lgkmcnt(0)
	s_cmp_ge_u32 s2, s8
	s_cbranch_scc1 .LBB109_9
; %bb.1:
	s_load_dword s4, s[0:1], 0x2c
	s_load_dwordx4 s[12:15], s[0:1], 0x0
	s_load_dword s26, s[0:1], 0x20
	s_add_u32 s6, s0, 32
	s_addc_u32 s7, s1, 0
	s_waitcnt lgkmcnt(0)
	s_and_b32 s27, s4, 0xffff
	s_cmp_lg_u32 s10, 0
	s_mul_i32 s3, s3, s27
	s_cselect_b64 s[20:21], -1, 0
	v_add_u32_e32 v4, s3, v0
	s_mov_b32 s5, 0
	s_mov_b32 s4, s9
	s_mul_hi_u32 s17, s10, s9
	s_mul_i32 s16, s10, s9
	v_cndmask_b32_e64 v0, 0, 1, s[20:21]
	v_cmp_gt_u32_e64 s[0:1], s9, v4
	s_lshl_b64 s[16:17], s[16:17], 1
	s_lshl_b64 s[18:19], s[4:5], 1
	v_cmp_ne_u32_e64 s[4:5], 1, v0
	v_mov_b32_e32 v1, 0
	s_branch .LBB109_3
.LBB109_2:                              ;   in Loop: Header=BB109_3 Depth=1
	s_or_b64 exec, exec, s[20:21]
	s_add_i32 s2, s2, s26
	s_cmp_ge_u32 s2, s8
	s_cbranch_scc1 .LBB109_9
.LBB109_3:                              ; =>This Loop Header: Depth=1
                                        ;     Child Loop BB109_6 Depth 2
                                        ;       Child Loop BB109_8 Depth 3
	s_and_saveexec_b64 s[20:21], s[0:1]
	s_cbranch_execz .LBB109_2
; %bb.4:                                ;   in Loop: Header=BB109_3 Depth=1
	s_load_dword s3, s[6:7], 0x4
	s_mul_i32 s23, s17, s2
	s_mul_hi_u32 s24, s16, s2
	s_mul_i32 s22, s16, s2
	s_add_i32 s23, s24, s23
	s_waitcnt lgkmcnt(0)
	s_mul_i32 s3, s3, s27
	s_mov_b64 s[24:25], 0
	v_mov_b32_e32 v0, v4
	s_branch .LBB109_6
.LBB109_5:                              ;   in Loop: Header=BB109_6 Depth=2
	v_add_u32_e32 v0, s3, v0
	v_cmp_le_u32_e32 vcc, s9, v0
	s_or_b64 s[24:25], vcc, s[24:25]
	s_andn2_b64 exec, exec, s[24:25]
	s_cbranch_execz .LBB109_2
.LBB109_6:                              ;   Parent Loop BB109_3 Depth=1
                                        ; =>  This Loop Header: Depth=2
                                        ;       Child Loop BB109_8 Depth 3
	s_and_b64 vcc, exec, s[4:5]
	s_cbranch_vccnz .LBB109_5
; %bb.7:                                ;   in Loop: Header=BB109_6 Depth=2
	v_lshl_add_u64 v[2:3], v[0:1], 1, s[22:23]
	v_mov_b32_e32 v5, s11
	s_mov_b32 s28, s10
.LBB109_8:                              ;   Parent Loop BB109_3 Depth=1
                                        ;     Parent Loop BB109_6 Depth=2
                                        ; =>    This Inner Loop Header: Depth=3
	v_lshl_add_u64 v[6:7], s[14:15], 0, v[2:3]
	global_load_ushort v8, v[6:7], off
	s_add_i32 s28, s28, -1
	v_lshl_add_u64 v[6:7], s[12:13], 0, v[2:3]
	v_lshl_add_u64 v[2:3], v[2:3], 0, s[18:19]
	s_cmp_eq_u32 s28, 0
	s_waitcnt vmcnt(0)
	v_add_f16_e32 v5, v5, v8
	global_store_short v[6:7], v5, off
	s_cbranch_scc0 .LBB109_8
	s_branch .LBB109_5
.LBB109_9:
	s_endpgm
	.section	.rodata,"a",@progbits
	.p2align	6, 0x0
	.amdhsa_kernel _ZN2at6native28tensor_kernel_scan_outer_dimIN3c104HalfEmSt4plusIS3_EEEvPT_PKS6_jjjS6_T1_
		.amdhsa_group_segment_fixed_size 0
		.amdhsa_private_segment_fixed_size 0
		.amdhsa_kernarg_size 288
		.amdhsa_user_sgpr_count 2
		.amdhsa_user_sgpr_dispatch_ptr 0
		.amdhsa_user_sgpr_queue_ptr 0
		.amdhsa_user_sgpr_kernarg_segment_ptr 1
		.amdhsa_user_sgpr_dispatch_id 0
		.amdhsa_user_sgpr_kernarg_preload_length 0
		.amdhsa_user_sgpr_kernarg_preload_offset 0
		.amdhsa_user_sgpr_private_segment_size 0
		.amdhsa_uses_dynamic_stack 0
		.amdhsa_enable_private_segment 0
		.amdhsa_system_sgpr_workgroup_id_x 1
		.amdhsa_system_sgpr_workgroup_id_y 1
		.amdhsa_system_sgpr_workgroup_id_z 0
		.amdhsa_system_sgpr_workgroup_info 0
		.amdhsa_system_vgpr_workitem_id 0
		.amdhsa_next_free_vgpr 9
		.amdhsa_next_free_sgpr 29
		.amdhsa_accum_offset 12
		.amdhsa_reserve_vcc 1
		.amdhsa_float_round_mode_32 0
		.amdhsa_float_round_mode_16_64 0
		.amdhsa_float_denorm_mode_32 3
		.amdhsa_float_denorm_mode_16_64 3
		.amdhsa_dx10_clamp 1
		.amdhsa_ieee_mode 1
		.amdhsa_fp16_overflow 0
		.amdhsa_tg_split 0
		.amdhsa_exception_fp_ieee_invalid_op 0
		.amdhsa_exception_fp_denorm_src 0
		.amdhsa_exception_fp_ieee_div_zero 0
		.amdhsa_exception_fp_ieee_overflow 0
		.amdhsa_exception_fp_ieee_underflow 0
		.amdhsa_exception_fp_ieee_inexact 0
		.amdhsa_exception_int_div_zero 0
	.end_amdhsa_kernel
	.section	.text._ZN2at6native28tensor_kernel_scan_outer_dimIN3c104HalfEmSt4plusIS3_EEEvPT_PKS6_jjjS6_T1_,"axG",@progbits,_ZN2at6native28tensor_kernel_scan_outer_dimIN3c104HalfEmSt4plusIS3_EEEvPT_PKS6_jjjS6_T1_,comdat
.Lfunc_end109:
	.size	_ZN2at6native28tensor_kernel_scan_outer_dimIN3c104HalfEmSt4plusIS3_EEEvPT_PKS6_jjjS6_T1_, .Lfunc_end109-_ZN2at6native28tensor_kernel_scan_outer_dimIN3c104HalfEmSt4plusIS3_EEEvPT_PKS6_jjjS6_T1_
                                        ; -- End function
	.set _ZN2at6native28tensor_kernel_scan_outer_dimIN3c104HalfEmSt4plusIS3_EEEvPT_PKS6_jjjS6_T1_.num_vgpr, 9
	.set _ZN2at6native28tensor_kernel_scan_outer_dimIN3c104HalfEmSt4plusIS3_EEEvPT_PKS6_jjjS6_T1_.num_agpr, 0
	.set _ZN2at6native28tensor_kernel_scan_outer_dimIN3c104HalfEmSt4plusIS3_EEEvPT_PKS6_jjjS6_T1_.numbered_sgpr, 29
	.set _ZN2at6native28tensor_kernel_scan_outer_dimIN3c104HalfEmSt4plusIS3_EEEvPT_PKS6_jjjS6_T1_.num_named_barrier, 0
	.set _ZN2at6native28tensor_kernel_scan_outer_dimIN3c104HalfEmSt4plusIS3_EEEvPT_PKS6_jjjS6_T1_.private_seg_size, 0
	.set _ZN2at6native28tensor_kernel_scan_outer_dimIN3c104HalfEmSt4plusIS3_EEEvPT_PKS6_jjjS6_T1_.uses_vcc, 1
	.set _ZN2at6native28tensor_kernel_scan_outer_dimIN3c104HalfEmSt4plusIS3_EEEvPT_PKS6_jjjS6_T1_.uses_flat_scratch, 0
	.set _ZN2at6native28tensor_kernel_scan_outer_dimIN3c104HalfEmSt4plusIS3_EEEvPT_PKS6_jjjS6_T1_.has_dyn_sized_stack, 0
	.set _ZN2at6native28tensor_kernel_scan_outer_dimIN3c104HalfEmSt4plusIS3_EEEvPT_PKS6_jjjS6_T1_.has_recursion, 0
	.set _ZN2at6native28tensor_kernel_scan_outer_dimIN3c104HalfEmSt4plusIS3_EEEvPT_PKS6_jjjS6_T1_.has_indirect_call, 0
	.section	.AMDGPU.csdata,"",@progbits
; Kernel info:
; codeLenInByte = 316
; TotalNumSgprs: 35
; NumVgprs: 9
; NumAgprs: 0
; TotalNumVgprs: 9
; ScratchSize: 0
; MemoryBound: 0
; FloatMode: 240
; IeeeMode: 1
; LDSByteSize: 0 bytes/workgroup (compile time only)
; SGPRBlocks: 4
; VGPRBlocks: 1
; NumSGPRsForWavesPerEU: 35
; NumVGPRsForWavesPerEU: 9
; AccumOffset: 12
; Occupancy: 8
; WaveLimiterHint : 0
; COMPUTE_PGM_RSRC2:SCRATCH_EN: 0
; COMPUTE_PGM_RSRC2:USER_SGPR: 2
; COMPUTE_PGM_RSRC2:TRAP_HANDLER: 0
; COMPUTE_PGM_RSRC2:TGID_X_EN: 1
; COMPUTE_PGM_RSRC2:TGID_Y_EN: 1
; COMPUTE_PGM_RSRC2:TGID_Z_EN: 0
; COMPUTE_PGM_RSRC2:TIDIG_COMP_CNT: 0
; COMPUTE_PGM_RSRC3_GFX90A:ACCUM_OFFSET: 2
; COMPUTE_PGM_RSRC3_GFX90A:TG_SPLIT: 0
	.section	.text._ZN2at4cuda3cub15calc_block_sumsILi512ELi16ELb0EN3c108BFloat16ES4_EEvPKT2_PT3_li,"axG",@progbits,_ZN2at4cuda3cub15calc_block_sumsILi512ELi16ELb0EN3c108BFloat16ES4_EEvPKT2_PT3_li,comdat
	.protected	_ZN2at4cuda3cub15calc_block_sumsILi512ELi16ELb0EN3c108BFloat16ES4_EEvPKT2_PT3_li ; -- Begin function _ZN2at4cuda3cub15calc_block_sumsILi512ELi16ELb0EN3c108BFloat16ES4_EEvPKT2_PT3_li
	.globl	_ZN2at4cuda3cub15calc_block_sumsILi512ELi16ELb0EN3c108BFloat16ES4_EEvPKT2_PT3_li
	.p2align	8
	.type	_ZN2at4cuda3cub15calc_block_sumsILi512ELi16ELb0EN3c108BFloat16ES4_EEvPKT2_PT3_li,@function
_ZN2at4cuda3cub15calc_block_sumsILi512ELi16ELb0EN3c108BFloat16ES4_EEvPKT2_PT3_li: ; @_ZN2at4cuda3cub15calc_block_sumsILi512ELi16ELb0EN3c108BFloat16ES4_EEvPKT2_PT3_li
; %bb.0:
	s_load_dword s16, s[0:1], 0x18
	s_load_dwordx2 s[10:11], s[0:1], 0x10
	s_waitcnt lgkmcnt(0)
	s_lshl_b32 s3, s16, 13
	s_ashr_i32 s4, s3, 31
	s_mul_hi_u32 s5, s3, s2
	s_mul_i32 s4, s4, s2
	s_add_i32 s13, s5, s4
	s_mul_i32 s12, s3, s2
	s_sub_u32 s8, s10, s12
	s_subb_u32 s9, s11, s13
	v_cmp_lt_i64_e64 s[4:5], s[8:9], 1
	s_and_b64 vcc, exec, s[4:5]
	s_cbranch_vccnz .LBB110_56
; %bb.1:
	s_load_dwordx4 s[4:7], s[0:1], 0x0
	s_cmp_gt_i32 s16, 0
	s_mov_b32 s3, 0
	s_cbranch_scc1 .LBB110_3
; %bb.2:
	s_mov_b64 s[0:1], -1
	v_mov_b32_e32 v3, 0
	s_cbranch_execz .LBB110_4
	s_branch .LBB110_53
.LBB110_3:
	s_mov_b64 s[0:1], 0
	v_mov_b32_e32 v3, 0
.LBB110_4:
	s_mul_i32 s11, s2, s16
	s_lshl_b32 s11, s11, 13
	s_sub_i32 s14, s10, s11
	s_lshl_b64 s[10:11], s[12:13], 1
	v_lshrrev_b32_e32 v2, 5, v0
	s_waitcnt lgkmcnt(0)
	s_add_u32 s4, s4, s10
	v_and_b32_e32 v24, 30, v2
	v_lshlrev_b32_e32 v2, 1, v0
	v_mov_b32_e32 v3, 0
	s_addc_u32 s5, s5, s11
	v_mbcnt_lo_u32_b32 v8, -1, 0
	v_add_u32_e32 v1, 0x200, v0
	v_or_b32_e32 v10, 0x400, v0
	v_add_u32_e32 v11, 0x600, v0
	v_or_b32_e32 v12, 0x800, v0
	;; [unrolled: 2-line block ×7, first 2 shown]
	v_add_u32_e32 v23, 0x1e00, v0
	v_cmp_gt_u32_e64 s[0:1], 64, v0
	v_lshl_add_u64 v[4:5], s[4:5], 0, v[2:3]
	v_mov_b64_e32 v[6:7], 0x2000
	s_movk_i32 s15, 0x7fff
	s_mov_b64 s[4:5], 0x4000
	v_mov_b32_e32 v2, 0x7fc00000
	v_mbcnt_hi_u32_b32 v25, -1, v8
	v_mov_b32_e32 v26, 0x7fc0
	v_mov_b64_e32 v[8:9], 0x2001
	s_branch .LBB110_6
.LBB110_5:                              ;   in Loop: Header=BB110_6 Depth=1
	s_andn2_b64 vcc, exec, s[12:13]
	s_cbranch_vccz .LBB110_52
.LBB110_6:                              ; =>This Inner Loop Header: Depth=1
	v_cmp_lt_i64_e32 vcc, s[8:9], v[6:7]
	s_mov_b64 s[10:11], -1
                                        ; implicit-def: $vgpr28
	s_cbranch_vccz .LBB110_44
; %bb.7:                                ;   in Loop: Header=BB110_6 Depth=1
	v_cmp_gt_u32_e32 vcc, s14, v0
	v_mov_b32_e32 v27, 0
	v_mov_b32_e32 v28, 0
	s_and_saveexec_b64 s[10:11], vcc
	s_cbranch_execz .LBB110_9
; %bb.8:                                ;   in Loop: Header=BB110_6 Depth=1
	global_load_ushort v28, v[4:5], off
	s_waitcnt vmcnt(0)
	v_lshlrev_b32_e32 v28, 16, v28
.LBB110_9:                              ;   in Loop: Header=BB110_6 Depth=1
	s_or_b64 exec, exec, s[10:11]
	v_cmp_gt_u32_e32 vcc, s14, v1
	s_and_saveexec_b64 s[10:11], vcc
	s_cbranch_execz .LBB110_11
; %bb.10:                               ;   in Loop: Header=BB110_6 Depth=1
	global_load_ushort v27, v[4:5], off offset:1024
	s_waitcnt vmcnt(0)
	v_lshlrev_b32_e32 v27, 16, v27
.LBB110_11:                             ;   in Loop: Header=BB110_6 Depth=1
	s_or_b64 exec, exec, s[10:11]
	v_cmp_gt_u32_e32 vcc, s14, v10
	v_mov_b32_e32 v29, 0
	v_mov_b32_e32 v30, 0
	s_and_saveexec_b64 s[10:11], vcc
	s_cbranch_execz .LBB110_13
; %bb.12:                               ;   in Loop: Header=BB110_6 Depth=1
	global_load_ushort v30, v[4:5], off offset:2048
	s_waitcnt vmcnt(0)
	v_lshlrev_b32_e32 v30, 16, v30
.LBB110_13:                             ;   in Loop: Header=BB110_6 Depth=1
	s_or_b64 exec, exec, s[10:11]
	v_cmp_gt_u32_e32 vcc, s14, v11
	s_and_saveexec_b64 s[10:11], vcc
	s_cbranch_execz .LBB110_15
; %bb.14:                               ;   in Loop: Header=BB110_6 Depth=1
	global_load_ushort v29, v[4:5], off offset:3072
	s_waitcnt vmcnt(0)
	v_lshlrev_b32_e32 v29, 16, v29
.LBB110_15:                             ;   in Loop: Header=BB110_6 Depth=1
	s_or_b64 exec, exec, s[10:11]
	v_cmp_gt_u32_e32 vcc, s14, v12
	v_mov_b32_e32 v31, 0
	v_mov_b32_e32 v32, 0
	s_and_saveexec_b64 s[10:11], vcc
	s_cbranch_execz .LBB110_17
; %bb.16:                               ;   in Loop: Header=BB110_6 Depth=1
	v_add_co_u32_e32 v32, vcc, 0x1000, v4
	s_nop 1
	v_addc_co_u32_e32 v33, vcc, 0, v5, vcc
	global_load_ushort v32, v[32:33], off
	s_waitcnt vmcnt(0)
	v_lshlrev_b32_e32 v32, 16, v32
.LBB110_17:                             ;   in Loop: Header=BB110_6 Depth=1
	s_or_b64 exec, exec, s[10:11]
	v_cmp_gt_u32_e32 vcc, s14, v13
	s_and_saveexec_b64 s[10:11], vcc
	s_cbranch_execz .LBB110_19
; %bb.18:                               ;   in Loop: Header=BB110_6 Depth=1
	v_add_co_u32_e32 v34, vcc, 0x1000, v4
	s_nop 1
	v_addc_co_u32_e32 v35, vcc, 0, v5, vcc
	global_load_ushort v31, v[34:35], off offset:1024
	s_waitcnt vmcnt(0)
	v_lshlrev_b32_e32 v31, 16, v31
.LBB110_19:                             ;   in Loop: Header=BB110_6 Depth=1
	s_or_b64 exec, exec, s[10:11]
	v_cmp_gt_u32_e32 vcc, s14, v14
	v_mov_b32_e32 v33, 0
	v_mov_b32_e32 v34, 0
	s_and_saveexec_b64 s[10:11], vcc
	s_cbranch_execz .LBB110_21
; %bb.20:                               ;   in Loop: Header=BB110_6 Depth=1
	v_add_co_u32_e32 v34, vcc, 0x1000, v4
	s_nop 1
	v_addc_co_u32_e32 v35, vcc, 0, v5, vcc
	global_load_ushort v34, v[34:35], off offset:2048
	s_waitcnt vmcnt(0)
	v_lshlrev_b32_e32 v34, 16, v34
.LBB110_21:                             ;   in Loop: Header=BB110_6 Depth=1
	s_or_b64 exec, exec, s[10:11]
	v_cmp_gt_u32_e32 vcc, s14, v15
	s_and_saveexec_b64 s[10:11], vcc
	s_cbranch_execz .LBB110_23
; %bb.22:                               ;   in Loop: Header=BB110_6 Depth=1
	v_add_co_u32_e32 v36, vcc, 0x1000, v4
	s_nop 1
	v_addc_co_u32_e32 v37, vcc, 0, v5, vcc
	global_load_ushort v33, v[36:37], off offset:3072
	s_waitcnt vmcnt(0)
	v_lshlrev_b32_e32 v33, 16, v33
.LBB110_23:                             ;   in Loop: Header=BB110_6 Depth=1
	s_or_b64 exec, exec, s[10:11]
	v_cmp_gt_u32_e32 vcc, s14, v16
	v_mov_b32_e32 v35, 0
	v_mov_b32_e32 v36, 0
	s_and_saveexec_b64 s[10:11], vcc
	s_cbranch_execz .LBB110_25
; %bb.24:                               ;   in Loop: Header=BB110_6 Depth=1
	v_add_co_u32_e32 v36, vcc, 0x2000, v4
	s_nop 1
	v_addc_co_u32_e32 v37, vcc, 0, v5, vcc
	global_load_ushort v36, v[36:37], off
	s_waitcnt vmcnt(0)
	v_lshlrev_b32_e32 v36, 16, v36
.LBB110_25:                             ;   in Loop: Header=BB110_6 Depth=1
	s_or_b64 exec, exec, s[10:11]
	v_cmp_gt_u32_e32 vcc, s14, v17
	s_and_saveexec_b64 s[10:11], vcc
	s_cbranch_execz .LBB110_27
; %bb.26:                               ;   in Loop: Header=BB110_6 Depth=1
	v_add_co_u32_e32 v38, vcc, 0x2000, v4
	s_nop 1
	v_addc_co_u32_e32 v39, vcc, 0, v5, vcc
	global_load_ushort v35, v[38:39], off offset:1024
	s_waitcnt vmcnt(0)
	v_lshlrev_b32_e32 v35, 16, v35
.LBB110_27:                             ;   in Loop: Header=BB110_6 Depth=1
	s_or_b64 exec, exec, s[10:11]
	v_cmp_gt_u32_e32 vcc, s14, v18
	v_mov_b32_e32 v37, 0
	v_mov_b32_e32 v38, 0
	s_and_saveexec_b64 s[10:11], vcc
	s_cbranch_execz .LBB110_29
; %bb.28:                               ;   in Loop: Header=BB110_6 Depth=1
	v_add_co_u32_e32 v38, vcc, 0x2000, v4
	s_nop 1
	v_addc_co_u32_e32 v39, vcc, 0, v5, vcc
	global_load_ushort v38, v[38:39], off offset:2048
	s_waitcnt vmcnt(0)
	v_lshlrev_b32_e32 v38, 16, v38
.LBB110_29:                             ;   in Loop: Header=BB110_6 Depth=1
	s_or_b64 exec, exec, s[10:11]
	v_cmp_gt_u32_e32 vcc, s14, v19
	s_and_saveexec_b64 s[10:11], vcc
	s_cbranch_execz .LBB110_31
; %bb.30:                               ;   in Loop: Header=BB110_6 Depth=1
	v_add_co_u32_e32 v40, vcc, 0x2000, v4
	s_nop 1
	v_addc_co_u32_e32 v41, vcc, 0, v5, vcc
	global_load_ushort v37, v[40:41], off offset:3072
	s_waitcnt vmcnt(0)
	v_lshlrev_b32_e32 v37, 16, v37
.LBB110_31:                             ;   in Loop: Header=BB110_6 Depth=1
	;; [unrolled: 52-line block ×3, first 2 shown]
	s_or_b64 exec, exec, s[10:11]
	v_add_f32_e32 v27, v28, v27
	v_bfe_u32 v28, v27, 16, 1
	v_add3_u32 v28, v27, v28, s15
	v_and_b32_e32 v28, 0xffff0000, v28
	v_cmp_o_f32_e32 vcc, v27, v27
	s_barrier
	s_nop 0
	v_cndmask_b32_e32 v27, v2, v28, vcc
	v_add_f32_e32 v27, v27, v30
	v_bfe_u32 v28, v27, 16, 1
	v_add3_u32 v28, v27, v28, s15
	v_and_b32_e32 v28, 0xffff0000, v28
	v_cmp_o_f32_e32 vcc, v27, v27
	s_nop 1
	v_cndmask_b32_e32 v27, v2, v28, vcc
	v_add_f32_e32 v27, v27, v29
	v_bfe_u32 v28, v27, 16, 1
	v_add3_u32 v28, v27, v28, s15
	v_and_b32_e32 v28, 0xffff0000, v28
	v_cmp_o_f32_e32 vcc, v27, v27
	;; [unrolled: 7-line block ×13, first 2 shown]
	s_nop 1
	v_cndmask_b32_e32 v27, v2, v28, vcc
	v_add_f32_e32 v27, v27, v41
	v_bfe_u32 v28, v27, 16, 1
	v_add3_u32 v28, v27, v28, s15
	v_lshrrev_b32_e32 v28, 16, v28
	v_cmp_o_f32_e32 vcc, v27, v27
	s_nop 1
	v_cndmask_b32_e32 v27, v26, v28, vcc
	s_nop 1
	v_mov_b32_dpp v28, v27 quad_perm:[1,0,3,2] row_mask:0xf bank_mask:0xf
	v_lshlrev_b32_e32 v27, 16, v27
	v_lshlrev_b32_e32 v28, 16, v28
	v_add_f32_e32 v27, v27, v28
	v_bfe_u32 v28, v27, 16, 1
	v_add3_u32 v28, v27, v28, s15
	v_lshrrev_b32_e32 v28, 16, v28
	v_cmp_o_f32_e32 vcc, v27, v27
	s_nop 1
	v_cndmask_b32_e32 v27, v26, v28, vcc
	s_nop 1
	v_mov_b32_dpp v28, v27 quad_perm:[2,3,0,1] row_mask:0xf bank_mask:0xf
	v_lshlrev_b32_e32 v27, 16, v27
	v_lshlrev_b32_e32 v28, 16, v28
	v_add_f32_e32 v27, v27, v28
	v_bfe_u32 v28, v27, 16, 1
	v_add3_u32 v28, v27, v28, s15
	v_lshrrev_b32_e32 v28, 16, v28
	v_cmp_o_f32_e32 vcc, v27, v27
	s_nop 1
	v_cndmask_b32_e32 v27, v26, v28, vcc
	s_nop 1
	v_mov_b32_dpp v28, v27 row_ror:4 row_mask:0xf bank_mask:0xf
	v_lshlrev_b32_e32 v27, 16, v27
	v_lshlrev_b32_e32 v28, 16, v28
	v_add_f32_e32 v27, v27, v28
	v_bfe_u32 v28, v27, 16, 1
	v_add3_u32 v28, v27, v28, s15
	v_lshrrev_b32_e32 v28, 16, v28
	v_cmp_o_f32_e32 vcc, v27, v27
	s_nop 1
	v_cndmask_b32_e32 v27, v26, v28, vcc
	s_nop 1
	v_mov_b32_dpp v28, v27 row_ror:8 row_mask:0xf bank_mask:0xf
	v_lshlrev_b32_e32 v27, 16, v27
	v_lshlrev_b32_e32 v28, 16, v28
	v_add_f32_e32 v27, v27, v28
	v_bfe_u32 v28, v27, 16, 1
	v_add3_u32 v28, v27, v28, s15
	v_lshrrev_b32_e32 v28, 16, v28
	v_cmp_o_f32_e32 vcc, v27, v27
	s_nop 1
	v_cndmask_b32_e32 v27, v26, v28, vcc
	s_nop 1
	v_mov_b32_dpp v28, v27 row_bcast:15 row_mask:0xf bank_mask:0xf
	v_lshlrev_b32_e32 v27, 16, v27
	v_lshlrev_b32_e32 v28, 16, v28
	v_add_f32_e32 v27, v27, v28
	v_bfe_u32 v28, v27, 16, 1
	v_add3_u32 v28, v27, v28, s15
	v_lshrrev_b32_e32 v28, 16, v28
	v_cmp_o_f32_e32 vcc, v27, v27
	s_nop 1
	v_cndmask_b32_e32 v27, v26, v28, vcc
	s_nop 1
	v_mov_b32_dpp v28, v27 row_bcast:31 row_mask:0xf bank_mask:0xf
	v_lshlrev_b32_e32 v27, 16, v27
	v_lshlrev_b32_e32 v28, 16, v28
	v_add_f32_e32 v28, v27, v28
	v_bfe_u32 v27, v28, 16, 1
	v_add3_u32 v29, v28, v27, s15
	v_lshlrev_b32_e32 v27, 2, v25
	v_cmp_o_f32_e32 vcc, v28, v28
	v_or_b32_e32 v30, 0xfc, v27
	s_nop 0
	v_cndmask_b32_sdwa v28, v26, v29, vcc dst_sel:DWORD dst_unused:UNUSED_PAD src0_sel:DWORD src1_sel:WORD_1
	ds_bpermute_b32 v28, v30, v28
	v_cmp_eq_u32_e32 vcc, 0, v25
	s_and_saveexec_b64 s[10:11], vcc
	s_cbranch_execz .LBB110_41
; %bb.40:                               ;   in Loop: Header=BB110_6 Depth=1
	s_waitcnt lgkmcnt(0)
	ds_write_b16 v24, v28
.LBB110_41:                             ;   in Loop: Header=BB110_6 Depth=1
	s_or_b64 exec, exec, s[10:11]
	s_waitcnt lgkmcnt(0)
	s_barrier
	s_and_saveexec_b64 s[10:11], s[0:1]
	s_cbranch_execz .LBB110_43
; %bb.42:                               ;   in Loop: Header=BB110_6 Depth=1
	v_and_b32_e32 v28, 7, v25
	v_lshlrev_b32_e32 v29, 1, v28
	ds_read_u16 v29, v29
	v_cmp_ne_u32_e32 vcc, 7, v28
	v_or_b32_e32 v27, 16, v27
	s_nop 0
	v_addc_co_u32_e32 v30, vcc, 0, v25, vcc
	v_lshlrev_b32_e32 v30, 2, v30
	s_waitcnt lgkmcnt(0)
	ds_bpermute_b32 v30, v30, v29
	v_lshlrev_b32_e32 v29, 16, v29
	v_cmp_gt_u32_e32 vcc, 6, v28
	s_waitcnt lgkmcnt(0)
	v_lshlrev_b32_e32 v30, 16, v30
	v_add_f32_e32 v29, v30, v29
	v_bfe_u32 v30, v29, 16, 1
	v_add3_u32 v30, v29, v30, s15
	v_cndmask_b32_e64 v28, 0, 2, vcc
	v_lshrrev_b32_e32 v30, 16, v30
	v_cmp_o_f32_e32 vcc, v29, v29
	v_add_lshl_u32 v28, v28, v25, 2
	s_nop 0
	v_cndmask_b32_e32 v29, v26, v30, vcc
	ds_bpermute_b32 v28, v28, v29
	v_lshlrev_b32_e32 v29, 16, v29
	s_waitcnt lgkmcnt(0)
	v_lshlrev_b32_e32 v28, 16, v28
	v_add_f32_e32 v28, v29, v28
	v_bfe_u32 v29, v28, 16, 1
	v_cmp_o_f32_e32 vcc, v28, v28
	v_add3_u32 v28, v28, v29, s15
	s_nop 0
	v_cndmask_b32_sdwa v28, v26, v28, vcc dst_sel:DWORD dst_unused:UNUSED_PAD src0_sel:DWORD src1_sel:WORD_1
	ds_bpermute_b32 v27, v27, v28
	v_lshlrev_b32_e32 v28, 16, v28
	s_waitcnt lgkmcnt(0)
	v_lshlrev_b32_e32 v27, 16, v27
	v_add_f32_e32 v27, v28, v27
	v_bfe_u32 v28, v27, 16, 1
	v_cmp_o_f32_e32 vcc, v27, v27
	v_add3_u32 v27, v27, v28, s15
	s_nop 0
	v_cndmask_b32_sdwa v28, v26, v27, vcc dst_sel:DWORD dst_unused:UNUSED_PAD src0_sel:DWORD src1_sel:WORD_1
.LBB110_43:                             ;   in Loop: Header=BB110_6 Depth=1
	s_or_b64 exec, exec, s[10:11]
	s_mov_b64 s[10:11], 0
.LBB110_44:                             ;   in Loop: Header=BB110_6 Depth=1
	s_and_b64 vcc, exec, s[10:11]
	s_cbranch_vccz .LBB110_50
; %bb.45:                               ;   in Loop: Header=BB110_6 Depth=1
	global_load_ushort v32, v[4:5], off offset:1024
	global_load_ushort v33, v[4:5], off offset:2048
	global_load_ushort v34, v[4:5], off offset:3072
	global_load_ushort v35, v[4:5], off
	v_add_co_u32_e32 v28, vcc, 0x1000, v4
	v_lshlrev_b32_e32 v27, 2, v25
	s_nop 0
	v_addc_co_u32_e32 v29, vcc, 0, v5, vcc
	v_add_co_u32_e32 v30, vcc, 0x2000, v4
	s_waitcnt vmcnt(3)
	v_lshlrev_b32_e32 v32, 16, v32
	v_addc_co_u32_e32 v31, vcc, 0, v5, vcc
	global_load_ushort v36, v[28:29], off
	global_load_ushort v37, v[28:29], off offset:1024
	global_load_ushort v38, v[28:29], off offset:2048
	;; [unrolled: 1-line block ×3, first 2 shown]
	global_load_ushort v40, v[30:31], off
	global_load_ushort v41, v[30:31], off offset:1024
	global_load_ushort v42, v[30:31], off offset:2048
	;; [unrolled: 1-line block ×3, first 2 shown]
	v_add_co_u32_e32 v28, vcc, 0x3000, v4
	s_waitcnt vmcnt(10)
	v_lshlrev_b32_e32 v33, 16, v33
	v_addc_co_u32_e32 v29, vcc, 0, v5, vcc
	global_load_ushort v30, v[28:29], off
	global_load_ushort v31, v[28:29], off offset:1024
	global_load_ushort v44, v[28:29], off offset:2048
	;; [unrolled: 1-line block ×3, first 2 shown]
	s_waitcnt vmcnt(12)
	v_lshlrev_b32_e32 v29, 16, v35
	v_add_f32_e32 v29, v32, v29
	v_bfe_u32 v32, v29, 16, 1
	v_add3_u32 v32, v29, v32, s15
	v_and_b32_e32 v32, 0xffff0000, v32
	v_cmp_o_f32_e32 vcc, v29, v29
	v_lshlrev_b32_e32 v34, 16, v34
	v_or_b32_e32 v28, 0xfc, v27
	v_cndmask_b32_e32 v29, v2, v32, vcc
	v_add_f32_e32 v29, v29, v33
	v_bfe_u32 v32, v29, 16, 1
	v_add3_u32 v32, v29, v32, s15
	v_and_b32_e32 v32, 0xffff0000, v32
	v_cmp_o_f32_e32 vcc, v29, v29
	s_barrier
	s_nop 0
	v_cndmask_b32_e32 v29, v2, v32, vcc
	v_add_f32_e32 v29, v29, v34
	v_bfe_u32 v32, v29, 16, 1
	v_add3_u32 v32, v29, v32, s15
	v_and_b32_e32 v32, 0xffff0000, v32
	v_cmp_o_f32_e32 vcc, v29, v29
	s_waitcnt vmcnt(11)
	v_lshlrev_b32_e32 v35, 16, v36
	v_cndmask_b32_e32 v29, v2, v32, vcc
	v_add_f32_e32 v29, v29, v35
	v_bfe_u32 v32, v29, 16, 1
	v_add3_u32 v32, v29, v32, s15
	v_and_b32_e32 v32, 0xffff0000, v32
	v_cmp_o_f32_e32 vcc, v29, v29
	s_waitcnt vmcnt(10)
	v_lshlrev_b32_e32 v36, 16, v37
	s_waitcnt vmcnt(9)
	v_lshlrev_b32_e32 v37, 16, v38
	v_cndmask_b32_e32 v29, v2, v32, vcc
	v_add_f32_e32 v29, v29, v36
	v_bfe_u32 v32, v29, 16, 1
	v_add3_u32 v32, v29, v32, s15
	v_and_b32_e32 v32, 0xffff0000, v32
	v_cmp_o_f32_e32 vcc, v29, v29
	s_waitcnt vmcnt(8)
	v_lshlrev_b32_e32 v38, 16, v39
	;; [unrolled: 10-line block ×6, first 2 shown]
	v_cndmask_b32_e32 v29, v2, v32, vcc
	v_add_f32_e32 v29, v29, v41
	v_bfe_u32 v32, v29, 16, 1
	v_add3_u32 v32, v29, v32, s15
	v_and_b32_e32 v32, 0xffff0000, v32
	v_cmp_o_f32_e32 vcc, v29, v29
	s_nop 1
	v_cndmask_b32_e32 v29, v2, v32, vcc
	v_add_f32_e32 v29, v29, v42
	v_bfe_u32 v32, v29, 16, 1
	v_add3_u32 v32, v29, v32, s15
	v_and_b32_e32 v32, 0xffff0000, v32
	v_cmp_o_f32_e32 vcc, v29, v29
	s_nop 1
	;; [unrolled: 7-line block ×5, first 2 shown]
	v_cndmask_b32_e32 v29, v2, v30, vcc
	v_add_f32_e32 v29, v29, v44
	v_bfe_u32 v30, v29, 16, 1
	v_add3_u32 v30, v29, v30, s15
	v_lshrrev_b32_e32 v30, 16, v30
	v_cmp_o_f32_e32 vcc, v29, v29
	s_nop 1
	v_cndmask_b32_e32 v29, v26, v30, vcc
	s_nop 1
	v_mov_b32_dpp v30, v29 quad_perm:[1,0,3,2] row_mask:0xf bank_mask:0xf
	v_lshlrev_b32_e32 v29, 16, v29
	v_lshlrev_b32_e32 v30, 16, v30
	v_add_f32_e32 v29, v29, v30
	v_bfe_u32 v30, v29, 16, 1
	v_add3_u32 v30, v29, v30, s15
	v_lshrrev_b32_e32 v30, 16, v30
	v_cmp_o_f32_e32 vcc, v29, v29
	s_nop 1
	v_cndmask_b32_e32 v29, v26, v30, vcc
	s_nop 1
	v_mov_b32_dpp v30, v29 quad_perm:[2,3,0,1] row_mask:0xf bank_mask:0xf
	v_lshlrev_b32_e32 v29, 16, v29
	v_lshlrev_b32_e32 v30, 16, v30
	v_add_f32_e32 v29, v29, v30
	v_bfe_u32 v30, v29, 16, 1
	v_add3_u32 v30, v29, v30, s15
	v_lshrrev_b32_e32 v30, 16, v30
	v_cmp_o_f32_e32 vcc, v29, v29
	s_nop 1
	v_cndmask_b32_e32 v29, v26, v30, vcc
	s_nop 1
	v_mov_b32_dpp v30, v29 row_ror:4 row_mask:0xf bank_mask:0xf
	v_lshlrev_b32_e32 v29, 16, v29
	v_lshlrev_b32_e32 v30, 16, v30
	v_add_f32_e32 v29, v29, v30
	v_bfe_u32 v30, v29, 16, 1
	v_add3_u32 v30, v29, v30, s15
	v_lshrrev_b32_e32 v30, 16, v30
	v_cmp_o_f32_e32 vcc, v29, v29
	s_nop 1
	v_cndmask_b32_e32 v29, v26, v30, vcc
	s_nop 1
	v_mov_b32_dpp v30, v29 row_ror:8 row_mask:0xf bank_mask:0xf
	v_lshlrev_b32_e32 v29, 16, v29
	v_lshlrev_b32_e32 v30, 16, v30
	v_add_f32_e32 v29, v29, v30
	v_bfe_u32 v30, v29, 16, 1
	v_add3_u32 v30, v29, v30, s15
	v_lshrrev_b32_e32 v30, 16, v30
	v_cmp_o_f32_e32 vcc, v29, v29
	s_nop 1
	v_cndmask_b32_e32 v29, v26, v30, vcc
	s_nop 1
	v_mov_b32_dpp v30, v29 row_bcast:15 row_mask:0xf bank_mask:0xf
	v_lshlrev_b32_e32 v29, 16, v29
	v_lshlrev_b32_e32 v30, 16, v30
	v_add_f32_e32 v29, v29, v30
	v_bfe_u32 v30, v29, 16, 1
	v_add3_u32 v30, v29, v30, s15
	v_lshrrev_b32_e32 v30, 16, v30
	v_cmp_o_f32_e32 vcc, v29, v29
	s_nop 1
	v_cndmask_b32_e32 v29, v26, v30, vcc
	s_nop 1
	v_mov_b32_dpp v30, v29 row_bcast:31 row_mask:0xf bank_mask:0xf
	v_lshlrev_b32_e32 v29, 16, v29
	v_lshlrev_b32_e32 v30, 16, v30
	v_add_f32_e32 v29, v29, v30
	v_bfe_u32 v30, v29, 16, 1
	v_cmp_o_f32_e32 vcc, v29, v29
	v_add3_u32 v29, v29, v30, s15
	s_nop 0
	v_cndmask_b32_sdwa v29, v26, v29, vcc dst_sel:DWORD dst_unused:UNUSED_PAD src0_sel:DWORD src1_sel:WORD_1
	ds_bpermute_b32 v28, v28, v29
	v_cmp_eq_u32_e32 vcc, 0, v25
	s_and_saveexec_b64 s[10:11], vcc
	s_cbranch_execz .LBB110_47
; %bb.46:                               ;   in Loop: Header=BB110_6 Depth=1
	s_waitcnt lgkmcnt(0)
	ds_write_b16 v24, v28
.LBB110_47:                             ;   in Loop: Header=BB110_6 Depth=1
	s_or_b64 exec, exec, s[10:11]
	s_waitcnt lgkmcnt(0)
	s_barrier
	s_and_saveexec_b64 s[10:11], s[0:1]
	s_cbranch_execz .LBB110_49
; %bb.48:                               ;   in Loop: Header=BB110_6 Depth=1
	v_and_b32_e32 v28, 7, v25
	v_lshlrev_b32_e32 v29, 1, v28
	ds_read_u16 v29, v29
	v_cmp_ne_u32_e32 vcc, 7, v28
	v_or_b32_e32 v27, 16, v27
	s_nop 0
	v_addc_co_u32_e32 v30, vcc, 0, v25, vcc
	v_lshlrev_b32_e32 v30, 2, v30
	s_waitcnt lgkmcnt(0)
	ds_bpermute_b32 v30, v30, v29
	v_lshlrev_b32_e32 v29, 16, v29
	v_cmp_gt_u32_e32 vcc, 6, v28
	s_waitcnt lgkmcnt(0)
	v_lshlrev_b32_e32 v30, 16, v30
	v_add_f32_e32 v29, v30, v29
	v_bfe_u32 v30, v29, 16, 1
	v_add3_u32 v30, v29, v30, s15
	v_cndmask_b32_e64 v28, 0, 2, vcc
	v_lshrrev_b32_e32 v30, 16, v30
	v_cmp_o_f32_e32 vcc, v29, v29
	v_add_lshl_u32 v28, v28, v25, 2
	s_nop 0
	v_cndmask_b32_e32 v29, v26, v30, vcc
	ds_bpermute_b32 v28, v28, v29
	v_lshlrev_b32_e32 v29, 16, v29
	s_waitcnt lgkmcnt(0)
	v_lshlrev_b32_e32 v28, 16, v28
	v_add_f32_e32 v28, v29, v28
	v_bfe_u32 v29, v28, 16, 1
	v_cmp_o_f32_e32 vcc, v28, v28
	v_add3_u32 v28, v28, v29, s15
	s_nop 0
	v_cndmask_b32_sdwa v28, v26, v28, vcc dst_sel:DWORD dst_unused:UNUSED_PAD src0_sel:DWORD src1_sel:WORD_1
	ds_bpermute_b32 v27, v27, v28
	v_lshlrev_b32_e32 v28, 16, v28
	s_waitcnt lgkmcnt(0)
	v_lshlrev_b32_e32 v27, 16, v27
	v_add_f32_e32 v27, v28, v27
	v_bfe_u32 v28, v27, 16, 1
	v_cmp_o_f32_e32 vcc, v27, v27
	v_add3_u32 v27, v27, v28, s15
	s_nop 0
	v_cndmask_b32_sdwa v28, v26, v27, vcc dst_sel:DWORD dst_unused:UNUSED_PAD src0_sel:DWORD src1_sel:WORD_1
.LBB110_49:                             ;   in Loop: Header=BB110_6 Depth=1
	s_or_b64 exec, exec, s[10:11]
.LBB110_50:                             ;   in Loop: Header=BB110_6 Depth=1
	v_cmp_lt_i64_e32 vcc, s[8:9], v[8:9]
	s_mov_b64 s[10:11], -1
	s_mov_b64 s[12:13], -1
	s_cbranch_vccnz .LBB110_5
; %bb.51:                               ;   in Loop: Header=BB110_6 Depth=1
	v_lshlrev_b32_e32 v27, 16, v28
	v_lshlrev_b32_e32 v3, 16, v3
	v_add_f32_e32 v3, v27, v3
	s_add_u32 s8, s8, 0xffffe000
	v_bfe_u32 v27, v3, 16, 1
	s_addc_u32 s9, s9, -1
	s_addk_i32 s14, 0xe000
	s_add_i32 s16, s16, -1
	v_add3_u32 v27, v3, v27, s15
	v_cmp_o_f32_e32 vcc, v3, v3
	s_cmp_eq_u32 s16, 0
	v_lshl_add_u64 v[4:5], v[4:5], 0, s[4:5]
	v_cndmask_b32_sdwa v3, v26, v27, vcc dst_sel:DWORD dst_unused:UNUSED_PAD src0_sel:DWORD src1_sel:WORD_1
	s_mov_b64 s[10:11], 0
	s_cselect_b64 s[12:13], -1, 0
	s_barrier
	s_branch .LBB110_5
.LBB110_52:
	s_xor_b64 s[0:1], s[10:11], -1
.LBB110_53:
	s_and_b64 vcc, exec, s[0:1]
	s_cbranch_vccz .LBB110_56
; %bb.54:
	v_cmp_eq_u32_e32 vcc, 0, v0
	s_and_saveexec_b64 s[0:1], vcc
	s_cbranch_execz .LBB110_56
; %bb.55:
	s_lshl_b64 s[0:1], s[2:3], 1
	s_waitcnt lgkmcnt(0)
	s_add_u32 s0, s6, s0
	s_addc_u32 s1, s7, s1
	v_mov_b32_e32 v0, 0
	global_store_short v0, v3, s[0:1]
.LBB110_56:
	s_endpgm
	.section	.rodata,"a",@progbits
	.p2align	6, 0x0
	.amdhsa_kernel _ZN2at4cuda3cub15calc_block_sumsILi512ELi16ELb0EN3c108BFloat16ES4_EEvPKT2_PT3_li
		.amdhsa_group_segment_fixed_size 16
		.amdhsa_private_segment_fixed_size 0
		.amdhsa_kernarg_size 28
		.amdhsa_user_sgpr_count 2
		.amdhsa_user_sgpr_dispatch_ptr 0
		.amdhsa_user_sgpr_queue_ptr 0
		.amdhsa_user_sgpr_kernarg_segment_ptr 1
		.amdhsa_user_sgpr_dispatch_id 0
		.amdhsa_user_sgpr_kernarg_preload_length 0
		.amdhsa_user_sgpr_kernarg_preload_offset 0
		.amdhsa_user_sgpr_private_segment_size 0
		.amdhsa_uses_dynamic_stack 0
		.amdhsa_enable_private_segment 0
		.amdhsa_system_sgpr_workgroup_id_x 1
		.amdhsa_system_sgpr_workgroup_id_y 0
		.amdhsa_system_sgpr_workgroup_id_z 0
		.amdhsa_system_sgpr_workgroup_info 0
		.amdhsa_system_vgpr_workitem_id 0
		.amdhsa_next_free_vgpr 46
		.amdhsa_next_free_sgpr 17
		.amdhsa_accum_offset 48
		.amdhsa_reserve_vcc 1
		.amdhsa_float_round_mode_32 0
		.amdhsa_float_round_mode_16_64 0
		.amdhsa_float_denorm_mode_32 3
		.amdhsa_float_denorm_mode_16_64 3
		.amdhsa_dx10_clamp 1
		.amdhsa_ieee_mode 1
		.amdhsa_fp16_overflow 0
		.amdhsa_tg_split 0
		.amdhsa_exception_fp_ieee_invalid_op 0
		.amdhsa_exception_fp_denorm_src 0
		.amdhsa_exception_fp_ieee_div_zero 0
		.amdhsa_exception_fp_ieee_overflow 0
		.amdhsa_exception_fp_ieee_underflow 0
		.amdhsa_exception_fp_ieee_inexact 0
		.amdhsa_exception_int_div_zero 0
	.end_amdhsa_kernel
	.section	.text._ZN2at4cuda3cub15calc_block_sumsILi512ELi16ELb0EN3c108BFloat16ES4_EEvPKT2_PT3_li,"axG",@progbits,_ZN2at4cuda3cub15calc_block_sumsILi512ELi16ELb0EN3c108BFloat16ES4_EEvPKT2_PT3_li,comdat
.Lfunc_end110:
	.size	_ZN2at4cuda3cub15calc_block_sumsILi512ELi16ELb0EN3c108BFloat16ES4_EEvPKT2_PT3_li, .Lfunc_end110-_ZN2at4cuda3cub15calc_block_sumsILi512ELi16ELb0EN3c108BFloat16ES4_EEvPKT2_PT3_li
                                        ; -- End function
	.set _ZN2at4cuda3cub15calc_block_sumsILi512ELi16ELb0EN3c108BFloat16ES4_EEvPKT2_PT3_li.num_vgpr, 46
	.set _ZN2at4cuda3cub15calc_block_sumsILi512ELi16ELb0EN3c108BFloat16ES4_EEvPKT2_PT3_li.num_agpr, 0
	.set _ZN2at4cuda3cub15calc_block_sumsILi512ELi16ELb0EN3c108BFloat16ES4_EEvPKT2_PT3_li.numbered_sgpr, 17
	.set _ZN2at4cuda3cub15calc_block_sumsILi512ELi16ELb0EN3c108BFloat16ES4_EEvPKT2_PT3_li.num_named_barrier, 0
	.set _ZN2at4cuda3cub15calc_block_sumsILi512ELi16ELb0EN3c108BFloat16ES4_EEvPKT2_PT3_li.private_seg_size, 0
	.set _ZN2at4cuda3cub15calc_block_sumsILi512ELi16ELb0EN3c108BFloat16ES4_EEvPKT2_PT3_li.uses_vcc, 1
	.set _ZN2at4cuda3cub15calc_block_sumsILi512ELi16ELb0EN3c108BFloat16ES4_EEvPKT2_PT3_li.uses_flat_scratch, 0
	.set _ZN2at4cuda3cub15calc_block_sumsILi512ELi16ELb0EN3c108BFloat16ES4_EEvPKT2_PT3_li.has_dyn_sized_stack, 0
	.set _ZN2at4cuda3cub15calc_block_sumsILi512ELi16ELb0EN3c108BFloat16ES4_EEvPKT2_PT3_li.has_recursion, 0
	.set _ZN2at4cuda3cub15calc_block_sumsILi512ELi16ELb0EN3c108BFloat16ES4_EEvPKT2_PT3_li.has_indirect_call, 0
	.section	.AMDGPU.csdata,"",@progbits
; Kernel info:
; codeLenInByte = 4040
; TotalNumSgprs: 23
; NumVgprs: 46
; NumAgprs: 0
; TotalNumVgprs: 46
; ScratchSize: 0
; MemoryBound: 0
; FloatMode: 240
; IeeeMode: 1
; LDSByteSize: 16 bytes/workgroup (compile time only)
; SGPRBlocks: 2
; VGPRBlocks: 5
; NumSGPRsForWavesPerEU: 23
; NumVGPRsForWavesPerEU: 46
; AccumOffset: 48
; Occupancy: 8
; WaveLimiterHint : 1
; COMPUTE_PGM_RSRC2:SCRATCH_EN: 0
; COMPUTE_PGM_RSRC2:USER_SGPR: 2
; COMPUTE_PGM_RSRC2:TRAP_HANDLER: 0
; COMPUTE_PGM_RSRC2:TGID_X_EN: 1
; COMPUTE_PGM_RSRC2:TGID_Y_EN: 0
; COMPUTE_PGM_RSRC2:TGID_Z_EN: 0
; COMPUTE_PGM_RSRC2:TIDIG_COMP_CNT: 0
; COMPUTE_PGM_RSRC3_GFX90A:ACCUM_OFFSET: 11
; COMPUTE_PGM_RSRC3_GFX90A:TG_SPLIT: 0
	.section	.text._ZN2at4cuda3cub17final_scan_kernelILi512ELi16EN3c108BFloat16EEEvPKT1_PS5_S8_li,"axG",@progbits,_ZN2at4cuda3cub17final_scan_kernelILi512ELi16EN3c108BFloat16EEEvPKT1_PS5_S8_li,comdat
	.protected	_ZN2at4cuda3cub17final_scan_kernelILi512ELi16EN3c108BFloat16EEEvPKT1_PS5_S8_li ; -- Begin function _ZN2at4cuda3cub17final_scan_kernelILi512ELi16EN3c108BFloat16EEEvPKT1_PS5_S8_li
	.globl	_ZN2at4cuda3cub17final_scan_kernelILi512ELi16EN3c108BFloat16EEEvPKT1_PS5_S8_li
	.p2align	8
	.type	_ZN2at4cuda3cub17final_scan_kernelILi512ELi16EN3c108BFloat16EEEvPKT1_PS5_S8_li,@function
_ZN2at4cuda3cub17final_scan_kernelILi512ELi16EN3c108BFloat16EEEvPKT1_PS5_S8_li: ; @_ZN2at4cuda3cub17final_scan_kernelILi512ELi16EN3c108BFloat16EEEvPKT1_PS5_S8_li
; %bb.0:
	s_load_dword s33, s[0:1], 0x20
	s_load_dwordx8 s[40:47], s[0:1], 0x0
	s_waitcnt lgkmcnt(0)
	s_lshl_b32 s3, s33, 13
	s_ashr_i32 s4, s3, 31
	s_mul_hi_u32 s5, s3, s2
	s_mul_i32 s4, s4, s2
	s_add_i32 s35, s5, s4
	s_mul_i32 s34, s3, s2
	s_sub_u32 s38, s46, s34
	s_subb_u32 s39, s47, s35
	v_cmp_lt_i64_e64 s[4:5], s[38:39], 1
	s_and_b64 vcc, exec, s[4:5]
	s_cbranch_vccnz .LBB111_118
; %bb.1:
	v_cmp_gt_u32_e32 vcc, s2, v0
	v_mov_b32_e32 v4, 0
	v_lshlrev_b32_e32 v8, 1, v0
	s_and_saveexec_b64 s[4:5], vcc
	s_cbranch_execz .LBB111_3
; %bb.2:
	global_load_ushort v4, v8, s[44:45]
.LBB111_3:
	s_or_b64 exec, exec, s[4:5]
	s_load_dword s0, s[0:1], 0x34
	s_waitcnt lgkmcnt(0)
	s_and_b32 s3, s0, 0xffff
	v_add_u32_e32 v2, s3, v0
	v_cmp_gt_u32_e32 vcc, s2, v2
	s_and_saveexec_b64 s[0:1], vcc
	s_cbranch_execz .LBB111_7
; %bb.4:
	s_mov_b64 s[4:5], 0
	v_mov_b32_e32 v3, 0
	s_movk_i32 s6, 0x7fff
	v_mov_b32_e32 v1, 0x7fc0
.LBB111_5:                              ; =>This Inner Loop Header: Depth=1
	v_lshl_add_u64 v[6:7], v[2:3], 1, s[44:45]
	global_load_ushort v5, v[6:7], off
	s_waitcnt vmcnt(1)
	v_lshlrev_b32_e32 v4, 16, v4
	v_add_u32_e32 v2, s3, v2
	v_cmp_le_u32_e32 vcc, s2, v2
	s_or_b64 s[4:5], vcc, s[4:5]
	s_waitcnt vmcnt(0)
	v_lshlrev_b32_e32 v5, 16, v5
	v_add_f32_e32 v4, v5, v4
	v_bfe_u32 v5, v4, 16, 1
	v_cmp_o_f32_e32 vcc, v4, v4
	v_add3_u32 v4, v4, v5, s6
	s_nop 0
	v_cndmask_b32_sdwa v4, v1, v4, vcc dst_sel:DWORD dst_unused:UNUSED_PAD src0_sel:DWORD src1_sel:WORD_1
	s_andn2_b64 exec, exec, s[4:5]
	s_cbranch_execnz .LBB111_5
; %bb.6:
	s_or_b64 exec, exec, s[4:5]
.LBB111_7:
	s_or_b64 exec, exec, s[0:1]
	s_waitcnt vmcnt(0)
	v_and_b32_e32 v2, 0xffff, v4
	v_lshlrev_b32_e32 v3, 16, v4
	s_movk_i32 s0, 0x7fff
	v_mov_b32_dpp v2, v2 quad_perm:[1,0,3,2] row_mask:0xf bank_mask:0xf
	v_lshlrev_b32_e32 v2, 16, v2
	v_add_f32_e32 v2, v2, v3
	v_bfe_u32 v3, v2, 16, 1
	v_add3_u32 v3, v2, v3, s0
	v_lshrrev_b32_e32 v3, 16, v3
	v_mov_b32_e32 v4, 0x7fc0
	v_cmp_o_f32_e32 vcc, v2, v2
	v_mbcnt_lo_u32_b32 v1, -1, 0
	v_mbcnt_hi_u32_b32 v1, -1, v1
	v_cndmask_b32_e32 v2, v4, v3, vcc
	s_nop 1
	v_mov_b32_dpp v3, v2 quad_perm:[2,3,0,1] row_mask:0xf bank_mask:0xf
	v_lshlrev_b32_e32 v2, 16, v2
	v_lshlrev_b32_e32 v3, 16, v3
	v_add_f32_e32 v2, v2, v3
	v_bfe_u32 v3, v2, 16, 1
	v_add3_u32 v3, v2, v3, s0
	v_lshrrev_b32_e32 v3, 16, v3
	v_cmp_o_f32_e32 vcc, v2, v2
	s_nop 1
	v_cndmask_b32_e32 v2, v4, v3, vcc
	s_nop 1
	v_mov_b32_dpp v3, v2 row_ror:4 row_mask:0xf bank_mask:0xf
	v_lshlrev_b32_e32 v2, 16, v2
	v_lshlrev_b32_e32 v3, 16, v3
	v_add_f32_e32 v2, v2, v3
	v_bfe_u32 v3, v2, 16, 1
	v_add3_u32 v3, v2, v3, s0
	v_lshrrev_b32_e32 v3, 16, v3
	v_cmp_o_f32_e32 vcc, v2, v2
	s_nop 1
	v_cndmask_b32_e32 v2, v4, v3, vcc
	s_nop 1
	v_mov_b32_dpp v3, v2 row_ror:8 row_mask:0xf bank_mask:0xf
	v_lshlrev_b32_e32 v2, 16, v2
	v_lshlrev_b32_e32 v3, 16, v3
	v_add_f32_e32 v2, v2, v3
	v_bfe_u32 v3, v2, 16, 1
	v_add3_u32 v3, v2, v3, s0
	v_lshrrev_b32_e32 v3, 16, v3
	v_cmp_o_f32_e32 vcc, v2, v2
	s_nop 1
	v_cndmask_b32_e32 v2, v4, v3, vcc
	s_nop 1
	v_mov_b32_dpp v3, v2 row_bcast:15 row_mask:0xf bank_mask:0xf
	v_lshlrev_b32_e32 v2, 16, v2
	v_lshlrev_b32_e32 v3, 16, v3
	v_add_f32_e32 v2, v2, v3
	v_bfe_u32 v3, v2, 16, 1
	v_add3_u32 v3, v2, v3, s0
	v_lshrrev_b32_e32 v3, 16, v3
	v_cmp_o_f32_e32 vcc, v2, v2
	s_nop 1
	v_cndmask_b32_e32 v2, v4, v3, vcc
	s_nop 1
	v_mov_b32_dpp v3, v2 row_bcast:31 row_mask:0xf bank_mask:0xf
	v_lshlrev_b32_e32 v2, 16, v2
	v_lshlrev_b32_e32 v3, 16, v3
	v_add_f32_e32 v2, v2, v3
	v_bfe_u32 v3, v2, 16, 1
	v_add3_u32 v5, v2, v3, s0
	v_lshlrev_b32_e32 v3, 2, v1
	v_cmp_o_f32_e32 vcc, v2, v2
	v_or_b32_e32 v6, 0xfc, v3
	v_cmp_eq_u32_e64 s[0:1], 0, v1
	v_cndmask_b32_sdwa v2, v4, v5, vcc dst_sel:DWORD dst_unused:UNUSED_PAD src0_sel:DWORD src1_sel:WORD_1
	ds_bpermute_b32 v9, v6, v2
	s_and_saveexec_b64 s[4:5], s[0:1]
	s_cbranch_execz .LBB111_9
; %bb.8:
	v_lshrrev_b32_e32 v2, 5, v0
	v_and_b32_e32 v2, 30, v2
	s_waitcnt lgkmcnt(0)
	ds_write_b16 v2, v9
.LBB111_9:
	s_or_b64 exec, exec, s[4:5]
	v_cmp_lt_u32_e64 s[36:37], 63, v0
	v_cmp_gt_u32_e64 s[4:5], 64, v0
	v_and_b32_e32 v2, 7, v1
	s_waitcnt lgkmcnt(0)
	s_barrier
	s_and_saveexec_b64 s[6:7], s[4:5]
	s_cbranch_execz .LBB111_11
; %bb.10:
	v_lshlrev_b32_e32 v4, 1, v2
	ds_read_u16 v4, v4
	v_cmp_ne_u32_e32 vcc, 7, v2
	s_movk_i32 s3, 0x7fff
	v_mov_b32_e32 v7, 0x7fc0
	v_addc_co_u32_e32 v5, vcc, 0, v1, vcc
	v_lshlrev_b32_e32 v5, 2, v5
	s_waitcnt lgkmcnt(0)
	ds_bpermute_b32 v5, v5, v4
	v_lshlrev_b32_e32 v4, 16, v4
	v_cmp_gt_u32_e32 vcc, 6, v2
	v_or_b32_e32 v3, 16, v3
	s_waitcnt lgkmcnt(0)
	v_lshlrev_b32_e32 v5, 16, v5
	v_add_f32_e32 v4, v5, v4
	v_bfe_u32 v5, v4, 16, 1
	v_add3_u32 v5, v4, v5, s3
	v_cndmask_b32_e64 v6, 0, 2, vcc
	v_lshrrev_b32_e32 v5, 16, v5
	v_cmp_o_f32_e32 vcc, v4, v4
	v_add_lshl_u32 v6, v6, v1, 2
	s_nop 0
	v_cndmask_b32_e32 v4, v7, v5, vcc
	ds_bpermute_b32 v5, v6, v4
	v_lshlrev_b32_e32 v4, 16, v4
	s_waitcnt lgkmcnt(0)
	v_lshlrev_b32_e32 v5, 16, v5
	v_add_f32_e32 v4, v4, v5
	v_bfe_u32 v5, v4, 16, 1
	v_add3_u32 v5, v4, v5, s3
	v_lshrrev_b32_e32 v5, 16, v5
	v_cmp_o_f32_e32 vcc, v4, v4
	s_nop 1
	v_cndmask_b32_e32 v4, v7, v5, vcc
	ds_bpermute_b32 v3, v3, v4
	v_lshlrev_b32_e32 v4, 16, v4
	s_waitcnt lgkmcnt(0)
	v_lshlrev_b32_e32 v3, 16, v3
	v_add_f32_e32 v3, v4, v3
	v_bfe_u32 v4, v3, 16, 1
	v_cmp_o_f32_e32 vcc, v3, v3
	v_add3_u32 v3, v3, v4, s3
	s_nop 0
	v_cndmask_b32_sdwa v9, v7, v3, vcc dst_sel:DWORD dst_unused:UNUSED_PAD src0_sel:DWORD src1_sel:WORD_1
.LBB111_11:
	s_or_b64 exec, exec, s[6:7]
	s_cmp_lt_i32 s33, 1
	s_barrier
	s_cbranch_scc1 .LBB111_118
; %bb.12:
	v_lshlrev_b32_e32 v3, 4, v0
	s_movk_i32 s3, 0x3c00
	v_and_or_b32 v10, v3, s3, v1
	v_lshrrev_b32_e32 v3, 4, v10
	v_add_u32_e32 v11, 64, v10
	v_and_b32_e32 v3, 0x3c4, v3
	v_lshlrev_b32_e32 v4, 1, v10
	v_add_u32_e32 v26, v3, v4
	v_lshrrev_b32_e32 v3, 4, v11
	v_or_b32_e32 v12, 0x80, v10
	v_and_b32_e32 v3, 0x3cc, v3
	v_add_u32_e32 v27, v3, v4
	v_lshrrev_b32_e32 v3, 4, v12
	v_add_u32_e32 v13, 0xc0, v10
	v_and_b32_e32 v3, 0x3cc, v3
	v_add_u32_e32 v28, v3, v4
	v_lshrrev_b32_e32 v3, 4, v13
	v_or_b32_e32 v14, 0x100, v10
	v_and_b32_e32 v3, 0x3dc, v3
	v_add_u32_e32 v29, v3, v4
	v_lshrrev_b32_e32 v3, 4, v14
	v_add_u32_e32 v15, 0x140, v10
	v_and_b32_e32 v3, 0x3d4, v3
	;; [unrolled: 8-line block ×7, first 2 shown]
	v_add_u32_e32 v40, v3, v4
	v_lshrrev_b32_e32 v3, 4, v25
	v_and_b32_e32 v3, 0x7fc, v3
	v_add_u32_e32 v41, v3, v4
	v_and_b32_e32 v3, 0x3c0, v0
	v_add_u16_e32 v5, v1, v3
	v_add_lshl_u32 v4, v1, v3, 4
	v_lshrrev_b16_e32 v5, 1, v5
	v_min_u32_e32 v3, 0x1c0, v3
	v_and_b32_e32 v5, 0x3fe, v5
	v_or_b32_e32 v3, 63, v3
	v_add_lshl_u32 v42, v5, v4, 1
	v_and_b32_e32 v4, 15, v1
	v_cmp_eq_u32_e64 s[18:19], v0, v3
	v_cmp_ne_u32_e64 s[22:23], 0, v2
	v_cmp_lt_u32_e64 s[24:25], 1, v2
	v_cmp_lt_u32_e64 s[26:27], 3, v2
	v_add_u32_e32 v2, -1, v1
	v_and_b32_e32 v3, 64, v1
	v_cmp_ne_u32_e64 s[6:7], 0, v4
	v_cmp_lt_u32_e64 s[8:9], 1, v4
	v_cmp_lt_u32_e64 s[10:11], 3, v4
	;; [unrolled: 1-line block ×3, first 2 shown]
	v_and_b32_e32 v4, 16, v1
	v_cmp_lt_i32_e32 vcc, v2, v3
	v_cmp_ne_u32_e64 s[14:15], 0, v4
	v_cmp_lt_u32_e64 s[16:17], 31, v1
	v_lshrrev_b32_e32 v4, 6, v0
	v_cmp_gt_u32_e64 s[20:21], 8, v0
	v_cndmask_b32_e32 v2, v2, v1, vcc
	v_cmp_eq_u32_e64 s[28:29], 0, v0
	v_cmp_ne_u32_e64 s[30:31], 0, v0
	v_lshlrev_b32_e32 v0, 1, v1
	v_mov_b32_e32 v1, 0
	v_lshlrev_b32_e32 v44, 2, v2
	v_lshlrev_b32_e32 v2, 11, v4
	v_mov_b32_e32 v3, v1
	s_mul_i32 s2, s2, s33
	v_lshlrev_b32_e32 v43, 1, v4
	v_lshl_add_u64 v[4:5], s[34:35], 1, v[2:3]
	s_lshl_b32 s2, s2, 13
	v_lshl_add_u64 v[2:3], s[40:41], 0, v[4:5]
	s_sub_i32 s44, s46, s2
	v_lshl_add_u64 v[4:5], s[42:43], 0, v[4:5]
	s_movk_i32 s45, 0x7fff
	v_mov_b32_e32 v45, 0x7fc00000
	v_mov_b32_e32 v46, 0x7fc0
	s_mov_b32 s46, 0x5040100
	s_mov_b64 s[2:3], 0x4000
	s_branch .LBB111_14
.LBB111_13:                             ;   in Loop: Header=BB111_14 Depth=1
	s_andn2_b64 vcc, exec, s[34:35]
	s_cbranch_vccz .LBB111_118
.LBB111_14:                             ; =>This Inner Loop Header: Depth=1
	v_mov_b64_e32 v[6:7], 0x1fff
	v_cmp_gt_i64_e32 vcc, s[38:39], v[6:7]
	s_mov_b64 s[40:41], -1
	v_cmp_gt_u32_e64 s[34:35], s44, v10
	s_cbranch_vccnz .LBB111_48
; %bb.15:                               ;   in Loop: Header=BB111_14 Depth=1
	v_lshl_add_u64 v[6:7], v[2:3], 0, v[0:1]
	v_mov_b32_e32 v47, 0
	v_mov_b32_e32 v48, 0
	s_and_saveexec_b64 s[40:41], s[34:35]
	s_cbranch_execz .LBB111_17
; %bb.16:                               ;   in Loop: Header=BB111_14 Depth=1
	global_load_ushort v48, v[6:7], off
.LBB111_17:                             ;   in Loop: Header=BB111_14 Depth=1
	s_or_b64 exec, exec, s[40:41]
	v_cmp_gt_u32_e32 vcc, s44, v11
	s_and_saveexec_b64 s[34:35], vcc
	s_cbranch_execz .LBB111_19
; %bb.18:                               ;   in Loop: Header=BB111_14 Depth=1
	global_load_ushort v47, v[6:7], off offset:128
.LBB111_19:                             ;   in Loop: Header=BB111_14 Depth=1
	s_or_b64 exec, exec, s[34:35]
	v_cmp_gt_u32_e32 vcc, s44, v12
	v_mov_b32_e32 v49, 0
	v_mov_b32_e32 v50, 0
	s_and_saveexec_b64 s[34:35], vcc
	s_cbranch_execz .LBB111_21
; %bb.20:                               ;   in Loop: Header=BB111_14 Depth=1
	global_load_ushort v50, v[6:7], off offset:256
.LBB111_21:                             ;   in Loop: Header=BB111_14 Depth=1
	s_or_b64 exec, exec, s[34:35]
	v_cmp_gt_u32_e32 vcc, s44, v13
	s_and_saveexec_b64 s[34:35], vcc
	s_cbranch_execz .LBB111_23
; %bb.22:                               ;   in Loop: Header=BB111_14 Depth=1
	global_load_ushort v49, v[6:7], off offset:384
.LBB111_23:                             ;   in Loop: Header=BB111_14 Depth=1
	s_or_b64 exec, exec, s[34:35]
	v_cmp_gt_u32_e32 vcc, s44, v14
	v_mov_b32_e32 v51, 0
	v_mov_b32_e32 v52, 0
	s_and_saveexec_b64 s[34:35], vcc
	s_cbranch_execz .LBB111_25
; %bb.24:                               ;   in Loop: Header=BB111_14 Depth=1
	global_load_ushort v52, v[6:7], off offset:512
.LBB111_25:                             ;   in Loop: Header=BB111_14 Depth=1
	;; [unrolled: 16-line block ×3, first 2 shown]
	s_or_b64 exec, exec, s[34:35]
	v_cmp_gt_u32_e32 vcc, s44, v17
	s_and_saveexec_b64 s[34:35], vcc
	s_cbranch_execz .LBB111_31
; %bb.30:                               ;   in Loop: Header=BB111_14 Depth=1
	global_load_ushort v53, v[6:7], off offset:896
.LBB111_31:                             ;   in Loop: Header=BB111_14 Depth=1
	s_or_b64 exec, exec, s[34:35]
	v_cmp_gt_u32_e32 vcc, s44, v18
	s_waitcnt lgkmcnt(0)
	v_mov_b32_e32 v55, 0
	v_mov_b32_e32 v56, 0
	s_and_saveexec_b64 s[34:35], vcc
	s_cbranch_execz .LBB111_33
; %bb.32:                               ;   in Loop: Header=BB111_14 Depth=1
	global_load_ushort v56, v[6:7], off offset:1024
.LBB111_33:                             ;   in Loop: Header=BB111_14 Depth=1
	s_or_b64 exec, exec, s[34:35]
	v_cmp_gt_u32_e32 vcc, s44, v19
	s_and_saveexec_b64 s[34:35], vcc
	s_cbranch_execz .LBB111_35
; %bb.34:                               ;   in Loop: Header=BB111_14 Depth=1
	global_load_ushort v55, v[6:7], off offset:1152
.LBB111_35:                             ;   in Loop: Header=BB111_14 Depth=1
	s_or_b64 exec, exec, s[34:35]
	v_cmp_gt_u32_e32 vcc, s44, v20
	v_mov_b32_e32 v57, 0
	v_mov_b32_e32 v58, 0
	s_and_saveexec_b64 s[34:35], vcc
	s_cbranch_execz .LBB111_37
; %bb.36:                               ;   in Loop: Header=BB111_14 Depth=1
	global_load_ushort v58, v[6:7], off offset:1280
.LBB111_37:                             ;   in Loop: Header=BB111_14 Depth=1
	s_or_b64 exec, exec, s[34:35]
	v_cmp_gt_u32_e32 vcc, s44, v21
	s_and_saveexec_b64 s[34:35], vcc
	s_cbranch_execz .LBB111_39
; %bb.38:                               ;   in Loop: Header=BB111_14 Depth=1
	global_load_ushort v57, v[6:7], off offset:1408
.LBB111_39:                             ;   in Loop: Header=BB111_14 Depth=1
	s_or_b64 exec, exec, s[34:35]
	v_cmp_gt_u32_e32 vcc, s44, v22
	;; [unrolled: 16-line block ×3, first 2 shown]
	v_mov_b32_e32 v61, 0
	v_mov_b32_e32 v62, 0
	s_and_saveexec_b64 s[34:35], vcc
	s_cbranch_execz .LBB111_45
; %bb.44:                               ;   in Loop: Header=BB111_14 Depth=1
	global_load_ushort v62, v[6:7], off offset:1792
.LBB111_45:                             ;   in Loop: Header=BB111_14 Depth=1
	s_or_b64 exec, exec, s[34:35]
	v_cmp_gt_u32_e32 vcc, s44, v25
	s_and_saveexec_b64 s[34:35], vcc
	s_cbranch_execz .LBB111_47
; %bb.46:                               ;   in Loop: Header=BB111_14 Depth=1
	global_load_ushort v61, v[6:7], off offset:1920
.LBB111_47:                             ;   in Loop: Header=BB111_14 Depth=1
	s_or_b64 exec, exec, s[34:35]
	s_mov_b64 s[40:41], 0
	s_waitcnt vmcnt(0)
	ds_write_b16 v26, v48
	ds_write_b16 v27, v47 offset:128
	ds_write_b16 v28, v50 offset:256
	;; [unrolled: 1-line block ×15, first 2 shown]
	; wave barrier
.LBB111_48:                             ;   in Loop: Header=BB111_14 Depth=1
	s_and_b64 vcc, exec, s[40:41]
	s_cbranch_vccz .LBB111_50
; %bb.49:                               ;   in Loop: Header=BB111_14 Depth=1
	v_lshl_add_u64 v[6:7], v[2:3], 0, v[0:1]
	global_load_ushort v47, v[6:7], off
	global_load_ushort v48, v[6:7], off offset:128
	global_load_ushort v49, v[6:7], off offset:256
	;; [unrolled: 1-line block ×7, first 2 shown]
	s_waitcnt lgkmcnt(0)
	global_load_ushort v55, v[6:7], off offset:1024
	global_load_ushort v56, v[6:7], off offset:1152
	;; [unrolled: 1-line block ×7, first 2 shown]
	s_nop 0
	global_load_ushort v6, v[6:7], off offset:1920
	s_waitcnt vmcnt(15)
	ds_write_b16 v26, v47
	s_waitcnt vmcnt(14)
	ds_write_b16 v27, v48 offset:128
	s_waitcnt vmcnt(13)
	ds_write_b16 v28, v49 offset:256
	;; [unrolled: 2-line block ×15, first 2 shown]
	; wave barrier
.LBB111_50:                             ;   in Loop: Header=BB111_14 Depth=1
	ds_read2_b32 v[48:49], v42 offset1:1
	ds_read2_b32 v[50:51], v42 offset0:2 offset1:3
	s_waitcnt lgkmcnt(2)
	ds_read2_b32 v[54:55], v42 offset0:4 offset1:5
	ds_read2_b32 v[58:59], v42 offset0:6 offset1:7
	s_waitcnt lgkmcnt(0)
	v_and_b32_e32 v6, 0xffff0000, v48
	v_lshlrev_b32_e32 v60, 16, v48
	v_add_f32_e32 v7, v6, v60
	v_bfe_u32 v47, v7, 16, 1
	v_add3_u32 v47, v7, v47, s45
	v_and_b32_e32 v47, 0xffff0000, v47
	v_cmp_o_f32_e32 vcc, v7, v7
	v_lshlrev_b32_e32 v7, 16, v49
	s_barrier
	v_cndmask_b32_e32 v47, v45, v47, vcc
	v_add_f32_e32 v47, v47, v7
	v_bfe_u32 v48, v47, 16, 1
	v_add3_u32 v48, v47, v48, s45
	v_and_b32_e32 v48, 0xffff0000, v48
	v_cmp_o_f32_e32 vcc, v47, v47
	v_and_b32_e32 v47, 0xffff0000, v49
	s_nop 0
	v_cndmask_b32_e32 v48, v45, v48, vcc
	v_add_f32_e32 v48, v48, v47
	v_bfe_u32 v49, v48, 16, 1
	v_add3_u32 v49, v48, v49, s45
	v_and_b32_e32 v49, 0xffff0000, v49
	v_cmp_o_f32_e32 vcc, v48, v48
	v_lshlrev_b32_e32 v48, 16, v50
	s_nop 0
	v_cndmask_b32_e32 v49, v45, v49, vcc
	v_add_f32_e32 v49, v49, v48
	v_bfe_u32 v52, v49, 16, 1
	v_add3_u32 v52, v49, v52, s45
	v_and_b32_e32 v52, 0xffff0000, v52
	v_cmp_o_f32_e32 vcc, v49, v49
	v_and_b32_e32 v49, 0xffff0000, v50
	s_nop 0
	v_cndmask_b32_e32 v52, v45, v52, vcc
	v_add_f32_e32 v50, v52, v49
	v_bfe_u32 v52, v50, 16, 1
	v_add3_u32 v52, v50, v52, s45
	v_and_b32_e32 v52, 0xffff0000, v52
	v_cmp_o_f32_e32 vcc, v50, v50
	v_lshlrev_b32_e32 v50, 16, v51
	v_and_b32_e32 v51, 0xffff0000, v51
	v_cndmask_b32_e32 v52, v45, v52, vcc
	v_add_f32_e32 v52, v52, v50
	v_bfe_u32 v53, v52, 16, 1
	v_add3_u32 v53, v52, v53, s45
	v_and_b32_e32 v53, 0xffff0000, v53
	v_cmp_o_f32_e32 vcc, v52, v52
	s_nop 1
	v_cndmask_b32_e32 v52, v45, v53, vcc
	v_add_f32_e32 v52, v52, v51
	v_bfe_u32 v53, v52, 16, 1
	v_add3_u32 v53, v52, v53, s45
	v_and_b32_e32 v53, 0xffff0000, v53
	v_cmp_o_f32_e32 vcc, v52, v52
	v_lshlrev_b32_e32 v52, 16, v54
	s_nop 0
	v_cndmask_b32_e32 v53, v45, v53, vcc
	v_add_f32_e32 v53, v53, v52
	v_bfe_u32 v56, v53, 16, 1
	v_add3_u32 v56, v53, v56, s45
	v_and_b32_e32 v56, 0xffff0000, v56
	v_cmp_o_f32_e32 vcc, v53, v53
	v_and_b32_e32 v53, 0xffff0000, v54
	s_nop 0
	v_cndmask_b32_e32 v56, v45, v56, vcc
	v_add_f32_e32 v54, v56, v53
	v_bfe_u32 v56, v54, 16, 1
	v_add3_u32 v56, v54, v56, s45
	v_and_b32_e32 v56, 0xffff0000, v56
	v_cmp_o_f32_e32 vcc, v54, v54
	v_lshlrev_b32_e32 v54, 16, v55
	v_and_b32_e32 v55, 0xffff0000, v55
	v_cndmask_b32_e32 v56, v45, v56, vcc
	v_add_f32_e32 v56, v56, v54
	v_bfe_u32 v57, v56, 16, 1
	v_add3_u32 v57, v56, v57, s45
	v_and_b32_e32 v57, 0xffff0000, v57
	v_cmp_o_f32_e32 vcc, v56, v56
	;; [unrolled: 31-line block ×3, first 2 shown]
	s_nop 1
	v_cndmask_b32_e32 v61, v45, v62, vcc
	v_add_f32_e32 v61, v61, v59
	v_bfe_u32 v62, v61, 16, 1
	v_add3_u32 v62, v61, v62, s45
	v_cmp_o_f32_e32 vcc, v61, v61
	s_nop 1
	v_cndmask_b32_sdwa v61, v46, v62, vcc dst_sel:DWORD dst_unused:UNUSED_PAD src0_sel:DWORD src1_sel:WORD_1
	v_and_b32_e32 v62, 0xffff, v61
	s_nop 1
	v_mov_b32_dpp v63, v62 row_shr:1 row_mask:0xf bank_mask:0xf
	s_and_saveexec_b64 s[34:35], s[6:7]
; %bb.51:                               ;   in Loop: Header=BB111_14 Depth=1
	v_lshlrev_b32_e32 v61, 16, v63
	v_lshlrev_b32_e32 v62, 16, v62
	v_add_f32_e32 v61, v62, v61
	v_bfe_u32 v62, v61, 16, 1
	v_add3_u32 v62, v61, v62, s45
	v_cmp_o_f32_e32 vcc, v61, v61
	s_nop 1
	v_cndmask_b32_sdwa v61, v46, v62, vcc dst_sel:DWORD dst_unused:UNUSED_PAD src0_sel:DWORD src1_sel:WORD_1
	v_and_b32_e32 v62, 0xffff, v61
; %bb.52:                               ;   in Loop: Header=BB111_14 Depth=1
	s_or_b64 exec, exec, s[34:35]
	s_nop 0
	v_mov_b32_dpp v63, v62 row_shr:2 row_mask:0xf bank_mask:0xf
	s_and_saveexec_b64 s[34:35], s[8:9]
; %bb.53:                               ;   in Loop: Header=BB111_14 Depth=1
	v_lshlrev_b32_e32 v61, 16, v62
	v_lshlrev_b32_e32 v62, 16, v63
	v_add_f32_e32 v61, v62, v61
	v_bfe_u32 v62, v61, 16, 1
	v_add3_u32 v62, v61, v62, s45
	v_cmp_o_f32_e32 vcc, v61, v61
	s_nop 1
	v_cndmask_b32_sdwa v61, v46, v62, vcc dst_sel:DWORD dst_unused:UNUSED_PAD src0_sel:DWORD src1_sel:WORD_1
	v_and_b32_e32 v62, 0xffff, v61
; %bb.54:                               ;   in Loop: Header=BB111_14 Depth=1
	s_or_b64 exec, exec, s[34:35]
	;; [unrolled: 15-line block ×4, first 2 shown]
	s_nop 0
	v_mov_b32_dpp v63, v62 row_bcast:15 row_mask:0xf bank_mask:0xf
	s_and_saveexec_b64 s[34:35], s[14:15]
; %bb.59:                               ;   in Loop: Header=BB111_14 Depth=1
	v_lshlrev_b32_e32 v61, 16, v62
	v_lshlrev_b32_e32 v62, 16, v63
	v_add_f32_e32 v61, v62, v61
	v_bfe_u32 v62, v61, 16, 1
	v_add3_u32 v62, v61, v62, s45
	v_cmp_o_f32_e32 vcc, v61, v61
	s_nop 1
	v_cndmask_b32_sdwa v61, v46, v62, vcc dst_sel:DWORD dst_unused:UNUSED_PAD src0_sel:DWORD src1_sel:WORD_1
	v_and_b32_e32 v62, 0xffff, v61
; %bb.60:                               ;   in Loop: Header=BB111_14 Depth=1
	s_or_b64 exec, exec, s[34:35]
	s_nop 0
	v_mov_b32_dpp v63, v62 row_bcast:31 row_mask:0xf bank_mask:0xf
	s_and_saveexec_b64 s[34:35], s[16:17]
; %bb.61:                               ;   in Loop: Header=BB111_14 Depth=1
	v_lshlrev_b32_e32 v61, 16, v62
	v_lshlrev_b32_e32 v62, 16, v63
	v_add_f32_e32 v61, v62, v61
	v_bfe_u32 v62, v61, 16, 1
	v_add3_u32 v62, v61, v62, s45
	v_cmp_o_f32_e32 vcc, v61, v61
	s_nop 1
	v_cndmask_b32_sdwa v61, v46, v62, vcc dst_sel:DWORD dst_unused:UNUSED_PAD src0_sel:DWORD src1_sel:WORD_1
; %bb.62:                               ;   in Loop: Header=BB111_14 Depth=1
	s_or_b64 exec, exec, s[34:35]
	s_and_saveexec_b64 s[34:35], s[18:19]
; %bb.63:                               ;   in Loop: Header=BB111_14 Depth=1
	ds_write_b16 v43, v61
; %bb.64:                               ;   in Loop: Header=BB111_14 Depth=1
	s_or_b64 exec, exec, s[34:35]
	s_waitcnt lgkmcnt(0)
	s_barrier
	s_and_saveexec_b64 s[34:35], s[20:21]
	s_cbranch_execz .LBB111_72
; %bb.65:                               ;   in Loop: Header=BB111_14 Depth=1
	ds_read_u16 v62, v8
	s_waitcnt lgkmcnt(0)
	v_and_b32_e32 v63, 0xffff, v62
	s_nop 1
	v_mov_b32_dpp v64, v63 row_shr:1 row_mask:0xf bank_mask:0xf
	s_and_saveexec_b64 s[40:41], s[22:23]
; %bb.66:                               ;   in Loop: Header=BB111_14 Depth=1
	v_lshlrev_b32_e32 v62, 16, v63
	v_lshlrev_b32_e32 v63, 16, v64
	v_add_f32_e32 v62, v63, v62
	v_bfe_u32 v63, v62, 16, 1
	v_add3_u32 v63, v62, v63, s45
	v_cmp_o_f32_e32 vcc, v62, v62
	s_nop 1
	v_cndmask_b32_sdwa v62, v46, v63, vcc dst_sel:DWORD dst_unused:UNUSED_PAD src0_sel:DWORD src1_sel:WORD_1
	v_and_b32_e32 v63, 0xffff, v62
; %bb.67:                               ;   in Loop: Header=BB111_14 Depth=1
	s_or_b64 exec, exec, s[40:41]
	s_nop 0
	v_mov_b32_dpp v64, v63 row_shr:2 row_mask:0xf bank_mask:0xf
	s_and_saveexec_b64 s[40:41], s[24:25]
; %bb.68:                               ;   in Loop: Header=BB111_14 Depth=1
	v_lshlrev_b32_e32 v62, 16, v63
	v_lshlrev_b32_e32 v63, 16, v64
	v_add_f32_e32 v62, v63, v62
	v_bfe_u32 v63, v62, 16, 1
	v_add3_u32 v63, v62, v63, s45
	v_cmp_o_f32_e32 vcc, v62, v62
	s_nop 1
	v_cndmask_b32_sdwa v62, v46, v63, vcc dst_sel:DWORD dst_unused:UNUSED_PAD src0_sel:DWORD src1_sel:WORD_1
	v_and_b32_e32 v63, 0xffff, v62
; %bb.69:                               ;   in Loop: Header=BB111_14 Depth=1
	s_or_b64 exec, exec, s[40:41]
	s_nop 0
	v_mov_b32_dpp v64, v63 row_shr:4 row_mask:0xf bank_mask:0xf
	s_and_saveexec_b64 s[40:41], s[26:27]
; %bb.70:                               ;   in Loop: Header=BB111_14 Depth=1
	v_lshlrev_b32_e32 v62, 16, v63
	v_lshlrev_b32_e32 v63, 16, v64
	v_add_f32_e32 v62, v63, v62
	v_bfe_u32 v63, v62, 16, 1
	v_add3_u32 v63, v62, v63, s45
	v_cmp_o_f32_e32 vcc, v62, v62
	s_nop 1
	v_cndmask_b32_sdwa v62, v46, v63, vcc dst_sel:DWORD dst_unused:UNUSED_PAD src0_sel:DWORD src1_sel:WORD_1
; %bb.71:                               ;   in Loop: Header=BB111_14 Depth=1
	s_or_b64 exec, exec, s[40:41]
	ds_write_b16 v8, v62
.LBB111_72:                             ;   in Loop: Header=BB111_14 Depth=1
	s_or_b64 exec, exec, s[34:35]
	v_mov_b64_e32 v[62:63], 0x2000
	v_cmp_lt_i64_e64 s[34:35], s[38:39], v[62:63]
	s_waitcnt lgkmcnt(0)
	s_barrier
                                        ; implicit-def: $vgpr62
	s_and_saveexec_b64 s[40:41], s[36:37]
	s_cbranch_execz .LBB111_74
; %bb.73:                               ;   in Loop: Header=BB111_14 Depth=1
	v_add_u32_e32 v62, -2, v43
	ds_read_u16 v62, v62
	v_lshlrev_b32_e32 v61, 16, v61
	s_waitcnt lgkmcnt(0)
	v_lshlrev_b32_e32 v63, 16, v62
	v_add_f32_e32 v61, v63, v61
	v_bfe_u32 v63, v61, 16, 1
	v_cmp_o_f32_e32 vcc, v61, v61
	v_add3_u32 v61, v61, v63, s45
	s_nop 0
	v_cndmask_b32_sdwa v61, v46, v61, vcc dst_sel:DWORD dst_unused:UNUSED_PAD src0_sel:DWORD src1_sel:WORD_1
.LBB111_74:                             ;   in Loop: Header=BB111_14 Depth=1
	s_or_b64 exec, exec, s[40:41]
	v_and_b32_e32 v61, 0xffff, v61
	ds_bpermute_b32 v61, v44, v61
	s_and_saveexec_b64 s[40:41], s[4:5]
	s_cbranch_execz .LBB111_78
; %bb.75:                               ;   in Loop: Header=BB111_14 Depth=1
	ds_read_u16 v63, v1 offset:14
	v_lshlrev_b32_e32 v64, 16, v9
	s_waitcnt lgkmcnt(0)
	v_lshlrev_b32_e32 v63, 16, v63
	v_add_f32_e32 v63, v63, v64
	v_cmp_o_f32_e32 vcc, v63, v63
	s_and_saveexec_b64 s[42:43], s[28:29]
; %bb.76:                               ;   in Loop: Header=BB111_14 Depth=1
	ds_write_b16 v1, v9 offset:14
; %bb.77:                               ;   in Loop: Header=BB111_14 Depth=1
	s_or_b64 exec, exec, s[42:43]
	v_bfe_u32 v9, v63, 16, 1
	v_add3_u32 v9, v63, v9, s45
	v_cndmask_b32_sdwa v9, v46, v9, vcc dst_sel:DWORD dst_unused:UNUSED_PAD src0_sel:DWORD src1_sel:WORD_1
.LBB111_78:                             ;   in Loop: Header=BB111_14 Depth=1
	s_or_b64 exec, exec, s[40:41]
	s_waitcnt lgkmcnt(0)
	s_barrier
	ds_read_u16 v63, v1 offset:14
	s_and_saveexec_b64 s[40:41], s[30:31]
; %bb.79:                               ;   in Loop: Header=BB111_14 Depth=1
	s_mov_b64 vcc, s[0:1]
	v_cndmask_b32_sdwa v61, v61, v62, vcc dst_sel:WORD_1 dst_unused:UNUSED_PAD src0_sel:DWORD src1_sel:DWORD
	s_nop 0
	v_add_f32_e32 v60, v60, v61
	v_bfe_u32 v61, v60, 16, 1
	v_add3_u32 v61, v60, v61, s45
	v_and_b32_e32 v61, 0xffff0000, v61
	v_cmp_o_f32_e32 vcc, v60, v60
	s_nop 1
	v_cndmask_b32_e32 v60, v45, v61, vcc
; %bb.80:                               ;   in Loop: Header=BB111_14 Depth=1
	s_or_b64 exec, exec, s[40:41]
	s_waitcnt lgkmcnt(0)
	v_lshlrev_b32_e32 v61, 16, v63
	v_add_f32_e32 v60, v60, v61
	v_bfe_u32 v61, v60, 16, 1
	v_add3_u32 v61, v60, v61, s45
	v_cmp_o_f32_e32 vcc, v60, v60
	s_barrier
	s_nop 0
	v_cndmask_b32_sdwa v60, v46, v61, vcc dst_sel:DWORD dst_unused:UNUSED_PAD src0_sel:DWORD src1_sel:WORD_1
	v_lshlrev_b32_e32 v61, 16, v60
	v_add_f32_e32 v6, v6, v61
	v_bfe_u32 v61, v6, 16, 1
	v_add3_u32 v61, v6, v61, s45
	v_cmp_o_f32_e32 vcc, v6, v6
	s_nop 1
	v_cndmask_b32_sdwa v6, v46, v61, vcc dst_sel:DWORD dst_unused:UNUSED_PAD src0_sel:DWORD src1_sel:WORD_1
	v_lshlrev_b32_e32 v61, 16, v6
	v_add_f32_e32 v7, v7, v61
	v_bfe_u32 v61, v7, 16, 1
	v_add3_u32 v61, v7, v61, s45
	v_cmp_o_f32_e32 vcc, v7, v7
	;; [unrolled: 7-line block ×4, first 2 shown]
	v_perm_b32 v47, v47, v7, s46
	s_nop 0
	v_cndmask_b32_sdwa v61, v46, v61, vcc dst_sel:DWORD dst_unused:UNUSED_PAD src0_sel:DWORD src1_sel:WORD_1
	v_lshlrev_b32_e32 v48, 16, v61
	v_add_f32_e32 v48, v49, v48
	v_bfe_u32 v49, v48, 16, 1
	v_add3_u32 v49, v48, v49, s45
	v_cmp_o_f32_e32 vcc, v48, v48
	s_nop 1
	v_cndmask_b32_sdwa v62, v46, v49, vcc dst_sel:DWORD dst_unused:UNUSED_PAD src0_sel:DWORD src1_sel:WORD_1
	v_lshlrev_b32_e32 v48, 16, v62
	v_add_f32_e32 v48, v50, v48
	v_bfe_u32 v49, v48, 16, 1
	v_add3_u32 v49, v48, v49, s45
	v_cmp_o_f32_e32 vcc, v48, v48
	;; [unrolled: 7-line block ×4, first 2 shown]
	v_perm_b32 v49, v50, v49, s46
	v_perm_b32 v50, v62, v61, s46
	v_cndmask_b32_sdwa v52, v46, v51, vcc dst_sel:DWORD dst_unused:UNUSED_PAD src0_sel:DWORD src1_sel:WORD_1
	v_lshlrev_b32_e32 v48, 16, v52
	v_add_f32_e32 v48, v53, v48
	v_bfe_u32 v51, v48, 16, 1
	v_add3_u32 v51, v48, v51, s45
	v_cmp_o_f32_e32 vcc, v48, v48
	s_nop 1
	v_cndmask_b32_sdwa v53, v46, v51, vcc dst_sel:DWORD dst_unused:UNUSED_PAD src0_sel:DWORD src1_sel:WORD_1
	v_lshlrev_b32_e32 v48, 16, v53
	v_add_f32_e32 v48, v54, v48
	v_bfe_u32 v51, v48, 16, 1
	v_add3_u32 v51, v48, v51, s45
	v_cmp_o_f32_e32 vcc, v48, v48
	v_perm_b32 v52, v53, v52, s46
	s_nop 0
	v_cndmask_b32_sdwa v51, v46, v51, vcc dst_sel:DWORD dst_unused:UNUSED_PAD src0_sel:DWORD src1_sel:WORD_1
	v_lshlrev_b32_e32 v48, 16, v51
	v_add_f32_e32 v48, v55, v48
	v_bfe_u32 v54, v48, 16, 1
	v_add3_u32 v54, v48, v54, s45
	v_cmp_o_f32_e32 vcc, v48, v48
	s_nop 1
	v_cndmask_b32_sdwa v54, v46, v54, vcc dst_sel:DWORD dst_unused:UNUSED_PAD src0_sel:DWORD src1_sel:WORD_1
	v_lshlrev_b32_e32 v48, 16, v54
	v_add_f32_e32 v48, v56, v48
	v_bfe_u32 v55, v48, 16, 1
	v_add3_u32 v55, v48, v55, s45
	v_cmp_o_f32_e32 vcc, v48, v48
	v_perm_b32 v51, v54, v51, s46
	s_nop 0
	;; [unrolled: 15-line block ×3, first 2 shown]
	v_cndmask_b32_sdwa v57, v46, v57, vcc dst_sel:DWORD dst_unused:UNUSED_PAD src0_sel:DWORD src1_sel:WORD_1
	v_lshlrev_b32_e32 v48, 16, v57
	v_add_f32_e32 v48, v59, v48
	v_bfe_u32 v58, v48, 16, 1
	v_add3_u32 v58, v48, v58, s45
	v_cmp_o_f32_e32 vcc, v48, v48
	v_perm_b32 v48, v6, v60, s46
	v_lshl_add_u64 v[6:7], v[4:5], 0, v[0:1]
	v_cndmask_b32_sdwa v58, v46, v58, vcc dst_sel:DWORD dst_unused:UNUSED_PAD src0_sel:DWORD src1_sel:WORD_1
	s_and_b64 vcc, exec, s[34:35]
	v_perm_b32 v53, v58, v57, s46
	s_cbranch_vccz .LBB111_103
; %bb.81:                               ;   in Loop: Header=BB111_14 Depth=1
	ds_write2_b32 v42, v48, v47 offset1:1
	ds_write2_b32 v42, v50, v49 offset0:2 offset1:3
	ds_write2_b32 v42, v52, v51 offset0:4 offset1:5
	;; [unrolled: 1-line block ×3, first 2 shown]
	; wave barrier
	ds_read_u16 v69, v27 offset:128
	ds_read_u16 v68, v28 offset:256
	;; [unrolled: 1-line block ×15, first 2 shown]
	v_cmp_gt_u32_e32 vcc, s44, v10
	s_and_saveexec_b64 s[34:35], vcc
	s_cbranch_execnz .LBB111_104
; %bb.82:                               ;   in Loop: Header=BB111_14 Depth=1
	s_or_b64 exec, exec, s[34:35]
	v_cmp_gt_u32_e32 vcc, s44, v11
	s_and_saveexec_b64 s[34:35], vcc
	s_cbranch_execnz .LBB111_105
.LBB111_83:                             ;   in Loop: Header=BB111_14 Depth=1
	s_or_b64 exec, exec, s[34:35]
	v_cmp_gt_u32_e32 vcc, s44, v12
	s_and_saveexec_b64 s[34:35], vcc
	s_cbranch_execnz .LBB111_106
.LBB111_84:                             ;   in Loop: Header=BB111_14 Depth=1
	s_or_b64 exec, exec, s[34:35]
	v_cmp_gt_u32_e32 vcc, s44, v13
	s_and_saveexec_b64 s[34:35], vcc
	s_cbranch_execnz .LBB111_107
.LBB111_85:                             ;   in Loop: Header=BB111_14 Depth=1
	s_or_b64 exec, exec, s[34:35]
	v_cmp_gt_u32_e32 vcc, s44, v14
	s_and_saveexec_b64 s[34:35], vcc
	s_cbranch_execnz .LBB111_108
.LBB111_86:                             ;   in Loop: Header=BB111_14 Depth=1
	s_or_b64 exec, exec, s[34:35]
	v_cmp_gt_u32_e32 vcc, s44, v15
	s_and_saveexec_b64 s[34:35], vcc
	s_cbranch_execnz .LBB111_109
.LBB111_87:                             ;   in Loop: Header=BB111_14 Depth=1
	s_or_b64 exec, exec, s[34:35]
	v_cmp_gt_u32_e32 vcc, s44, v16
	s_and_saveexec_b64 s[34:35], vcc
	s_cbranch_execnz .LBB111_110
.LBB111_88:                             ;   in Loop: Header=BB111_14 Depth=1
	s_or_b64 exec, exec, s[34:35]
	v_cmp_gt_u32_e32 vcc, s44, v17
	s_and_saveexec_b64 s[34:35], vcc
	s_cbranch_execnz .LBB111_111
.LBB111_89:                             ;   in Loop: Header=BB111_14 Depth=1
	s_or_b64 exec, exec, s[34:35]
	v_cmp_gt_u32_e32 vcc, s44, v18
	s_and_saveexec_b64 s[34:35], vcc
	s_cbranch_execnz .LBB111_112
.LBB111_90:                             ;   in Loop: Header=BB111_14 Depth=1
	s_or_b64 exec, exec, s[34:35]
	v_cmp_gt_u32_e32 vcc, s44, v19
	s_and_saveexec_b64 s[34:35], vcc
	s_cbranch_execnz .LBB111_113
.LBB111_91:                             ;   in Loop: Header=BB111_14 Depth=1
	s_or_b64 exec, exec, s[34:35]
	v_cmp_gt_u32_e32 vcc, s44, v20
	s_and_saveexec_b64 s[34:35], vcc
	s_cbranch_execnz .LBB111_114
.LBB111_92:                             ;   in Loop: Header=BB111_14 Depth=1
	s_or_b64 exec, exec, s[34:35]
	v_cmp_gt_u32_e32 vcc, s44, v21
	s_and_saveexec_b64 s[34:35], vcc
	s_cbranch_execnz .LBB111_115
.LBB111_93:                             ;   in Loop: Header=BB111_14 Depth=1
	s_or_b64 exec, exec, s[34:35]
	v_cmp_gt_u32_e32 vcc, s44, v22
	s_and_saveexec_b64 s[34:35], vcc
	s_cbranch_execnz .LBB111_116
.LBB111_94:                             ;   in Loop: Header=BB111_14 Depth=1
	s_or_b64 exec, exec, s[34:35]
	v_cmp_gt_u32_e32 vcc, s44, v23
	s_and_saveexec_b64 s[34:35], vcc
	s_cbranch_execnz .LBB111_117
.LBB111_95:                             ;   in Loop: Header=BB111_14 Depth=1
	s_or_b64 exec, exec, s[34:35]
	v_cmp_gt_u32_e32 vcc, s44, v24
	s_and_saveexec_b64 s[34:35], vcc
	s_cbranch_execz .LBB111_97
.LBB111_96:                             ;   in Loop: Header=BB111_14 Depth=1
	s_waitcnt lgkmcnt(1)
	global_store_short v[6:7], v56, off offset:1792
.LBB111_97:                             ;   in Loop: Header=BB111_14 Depth=1
	s_or_b64 exec, exec, s[34:35]
	v_cmp_gt_u32_e64 s[34:35], s44, v25
	s_branch .LBB111_99
.LBB111_98:                             ;   in Loop: Header=BB111_14 Depth=1
	ds_write2_b32 v42, v48, v47 offset1:1
	ds_write2_b32 v42, v50, v49 offset0:2 offset1:3
	ds_write2_b32 v42, v52, v51 offset0:4 offset1:5
	;; [unrolled: 1-line block ×3, first 2 shown]
	; wave barrier
	ds_read_u16 v47, v26
	ds_read_u16 v48, v27 offset:128
	ds_read_u16 v49, v28 offset:256
	;; [unrolled: 1-line block ×7, first 2 shown]
	s_waitcnt lgkmcnt(13)
	ds_read_u16 v56, v34 offset:1024
	ds_read_u16 v57, v35 offset:1152
	;; [unrolled: 1-line block ×7, first 2 shown]
	s_waitcnt lgkmcnt(14)
	ds_read_u16 v55, v41 offset:1920
	s_or_b64 s[34:35], s[34:35], exec
	global_store_short v[6:7], v47, off
	s_waitcnt lgkmcnt(14)
	global_store_short v[6:7], v48, off offset:128
	s_waitcnt lgkmcnt(13)
	global_store_short v[6:7], v49, off offset:256
	;; [unrolled: 2-line block ×14, first 2 shown]
.LBB111_99:                             ;   in Loop: Header=BB111_14 Depth=1
	s_and_saveexec_b64 s[40:41], s[34:35]
	s_cbranch_execz .LBB111_101
; %bb.100:                              ;   in Loop: Header=BB111_14 Depth=1
	s_waitcnt lgkmcnt(0)
	global_store_short v[6:7], v55, off offset:1920
.LBB111_101:                            ;   in Loop: Header=BB111_14 Depth=1
	s_or_b64 exec, exec, s[40:41]
	v_mov_b64_e32 v[6:7], 0x2001
	v_cmp_lt_i64_e32 vcc, s[38:39], v[6:7]
	s_mov_b64 s[34:35], -1
	s_cbranch_vccnz .LBB111_13
; %bb.102:                              ;   in Loop: Header=BB111_14 Depth=1
	s_add_u32 s38, s38, 0xffffe000
	s_addc_u32 s39, s39, -1
	s_add_i32 s33, s33, -1
	s_addk_i32 s44, 0xe000
	s_cmp_eq_u32 s33, 0
	v_lshl_add_u64 v[2:3], v[2:3], 0, s[2:3]
	v_lshl_add_u64 v[4:5], v[4:5], 0, s[2:3]
	s_cselect_b64 s[34:35], -1, 0
	s_waitcnt lgkmcnt(0)
	s_barrier
	s_branch .LBB111_13
.LBB111_103:                            ;   in Loop: Header=BB111_14 Depth=1
	s_mov_b64 s[34:35], 0
                                        ; implicit-def: $vgpr55
	s_cbranch_execnz .LBB111_98
	s_branch .LBB111_99
.LBB111_104:                            ;   in Loop: Header=BB111_14 Depth=1
	ds_read_u16 v70, v26
	s_waitcnt lgkmcnt(0)
	global_store_short v[6:7], v70, off
	s_or_b64 exec, exec, s[34:35]
	v_cmp_gt_u32_e32 vcc, s44, v11
	s_and_saveexec_b64 s[34:35], vcc
	s_cbranch_execz .LBB111_83
.LBB111_105:                            ;   in Loop: Header=BB111_14 Depth=1
	s_waitcnt lgkmcnt(14)
	global_store_short v[6:7], v69, off offset:128
	s_or_b64 exec, exec, s[34:35]
	v_cmp_gt_u32_e32 vcc, s44, v12
	s_and_saveexec_b64 s[34:35], vcc
	s_cbranch_execz .LBB111_84
.LBB111_106:                            ;   in Loop: Header=BB111_14 Depth=1
	s_waitcnt lgkmcnt(13)
	global_store_short v[6:7], v68, off offset:256
	s_or_b64 exec, exec, s[34:35]
	v_cmp_gt_u32_e32 vcc, s44, v13
	s_and_saveexec_b64 s[34:35], vcc
	s_cbranch_execz .LBB111_85
.LBB111_107:                            ;   in Loop: Header=BB111_14 Depth=1
	s_waitcnt lgkmcnt(12)
	global_store_short v[6:7], v67, off offset:384
	s_or_b64 exec, exec, s[34:35]
	v_cmp_gt_u32_e32 vcc, s44, v14
	s_and_saveexec_b64 s[34:35], vcc
	s_cbranch_execz .LBB111_86
.LBB111_108:                            ;   in Loop: Header=BB111_14 Depth=1
	s_waitcnt lgkmcnt(11)
	global_store_short v[6:7], v66, off offset:512
	s_or_b64 exec, exec, s[34:35]
	v_cmp_gt_u32_e32 vcc, s44, v15
	s_and_saveexec_b64 s[34:35], vcc
	s_cbranch_execz .LBB111_87
.LBB111_109:                            ;   in Loop: Header=BB111_14 Depth=1
	s_waitcnt lgkmcnt(10)
	global_store_short v[6:7], v65, off offset:640
	s_or_b64 exec, exec, s[34:35]
	v_cmp_gt_u32_e32 vcc, s44, v16
	s_and_saveexec_b64 s[34:35], vcc
	s_cbranch_execz .LBB111_88
.LBB111_110:                            ;   in Loop: Header=BB111_14 Depth=1
	s_waitcnt lgkmcnt(9)
	global_store_short v[6:7], v64, off offset:768
	s_or_b64 exec, exec, s[34:35]
	v_cmp_gt_u32_e32 vcc, s44, v17
	s_and_saveexec_b64 s[34:35], vcc
	s_cbranch_execz .LBB111_89
.LBB111_111:                            ;   in Loop: Header=BB111_14 Depth=1
	s_waitcnt lgkmcnt(8)
	global_store_short v[6:7], v63, off offset:896
	s_or_b64 exec, exec, s[34:35]
	v_cmp_gt_u32_e32 vcc, s44, v18
	s_and_saveexec_b64 s[34:35], vcc
	s_cbranch_execz .LBB111_90
.LBB111_112:                            ;   in Loop: Header=BB111_14 Depth=1
	s_waitcnt lgkmcnt(7)
	global_store_short v[6:7], v62, off offset:1024
	s_or_b64 exec, exec, s[34:35]
	v_cmp_gt_u32_e32 vcc, s44, v19
	s_and_saveexec_b64 s[34:35], vcc
	s_cbranch_execz .LBB111_91
.LBB111_113:                            ;   in Loop: Header=BB111_14 Depth=1
	s_waitcnt lgkmcnt(6)
	global_store_short v[6:7], v61, off offset:1152
	s_or_b64 exec, exec, s[34:35]
	v_cmp_gt_u32_e32 vcc, s44, v20
	s_and_saveexec_b64 s[34:35], vcc
	s_cbranch_execz .LBB111_92
.LBB111_114:                            ;   in Loop: Header=BB111_14 Depth=1
	s_waitcnt lgkmcnt(5)
	global_store_short v[6:7], v60, off offset:1280
	s_or_b64 exec, exec, s[34:35]
	v_cmp_gt_u32_e32 vcc, s44, v21
	s_and_saveexec_b64 s[34:35], vcc
	s_cbranch_execz .LBB111_93
.LBB111_115:                            ;   in Loop: Header=BB111_14 Depth=1
	s_waitcnt lgkmcnt(4)
	global_store_short v[6:7], v59, off offset:1408
	s_or_b64 exec, exec, s[34:35]
	v_cmp_gt_u32_e32 vcc, s44, v22
	s_and_saveexec_b64 s[34:35], vcc
	s_cbranch_execz .LBB111_94
.LBB111_116:                            ;   in Loop: Header=BB111_14 Depth=1
	s_waitcnt lgkmcnt(3)
	global_store_short v[6:7], v58, off offset:1536
	s_or_b64 exec, exec, s[34:35]
	v_cmp_gt_u32_e32 vcc, s44, v23
	s_and_saveexec_b64 s[34:35], vcc
	s_cbranch_execz .LBB111_95
.LBB111_117:                            ;   in Loop: Header=BB111_14 Depth=1
	s_waitcnt lgkmcnt(2)
	global_store_short v[6:7], v57, off offset:1664
	s_or_b64 exec, exec, s[34:35]
	v_cmp_gt_u32_e32 vcc, s44, v24
	s_and_saveexec_b64 s[34:35], vcc
	s_cbranch_execnz .LBB111_96
	s_branch .LBB111_97
.LBB111_118:
	s_endpgm
	.section	.rodata,"a",@progbits
	.p2align	6, 0x0
	.amdhsa_kernel _ZN2at4cuda3cub17final_scan_kernelILi512ELi16EN3c108BFloat16EEEvPKT1_PS5_S8_li
		.amdhsa_group_segment_fixed_size 16896
		.amdhsa_private_segment_fixed_size 0
		.amdhsa_kernarg_size 296
		.amdhsa_user_sgpr_count 2
		.amdhsa_user_sgpr_dispatch_ptr 0
		.amdhsa_user_sgpr_queue_ptr 0
		.amdhsa_user_sgpr_kernarg_segment_ptr 1
		.amdhsa_user_sgpr_dispatch_id 0
		.amdhsa_user_sgpr_kernarg_preload_length 0
		.amdhsa_user_sgpr_kernarg_preload_offset 0
		.amdhsa_user_sgpr_private_segment_size 0
		.amdhsa_uses_dynamic_stack 0
		.amdhsa_enable_private_segment 0
		.amdhsa_system_sgpr_workgroup_id_x 1
		.amdhsa_system_sgpr_workgroup_id_y 0
		.amdhsa_system_sgpr_workgroup_id_z 0
		.amdhsa_system_sgpr_workgroup_info 0
		.amdhsa_system_vgpr_workitem_id 0
		.amdhsa_next_free_vgpr 71
		.amdhsa_next_free_sgpr 48
		.amdhsa_accum_offset 72
		.amdhsa_reserve_vcc 1
		.amdhsa_float_round_mode_32 0
		.amdhsa_float_round_mode_16_64 0
		.amdhsa_float_denorm_mode_32 3
		.amdhsa_float_denorm_mode_16_64 3
		.amdhsa_dx10_clamp 1
		.amdhsa_ieee_mode 1
		.amdhsa_fp16_overflow 0
		.amdhsa_tg_split 0
		.amdhsa_exception_fp_ieee_invalid_op 0
		.amdhsa_exception_fp_denorm_src 0
		.amdhsa_exception_fp_ieee_div_zero 0
		.amdhsa_exception_fp_ieee_overflow 0
		.amdhsa_exception_fp_ieee_underflow 0
		.amdhsa_exception_fp_ieee_inexact 0
		.amdhsa_exception_int_div_zero 0
	.end_amdhsa_kernel
	.section	.text._ZN2at4cuda3cub17final_scan_kernelILi512ELi16EN3c108BFloat16EEEvPKT1_PS5_S8_li,"axG",@progbits,_ZN2at4cuda3cub17final_scan_kernelILi512ELi16EN3c108BFloat16EEEvPKT1_PS5_S8_li,comdat
.Lfunc_end111:
	.size	_ZN2at4cuda3cub17final_scan_kernelILi512ELi16EN3c108BFloat16EEEvPKT1_PS5_S8_li, .Lfunc_end111-_ZN2at4cuda3cub17final_scan_kernelILi512ELi16EN3c108BFloat16EEEvPKT1_PS5_S8_li
                                        ; -- End function
	.set _ZN2at4cuda3cub17final_scan_kernelILi512ELi16EN3c108BFloat16EEEvPKT1_PS5_S8_li.num_vgpr, 71
	.set _ZN2at4cuda3cub17final_scan_kernelILi512ELi16EN3c108BFloat16EEEvPKT1_PS5_S8_li.num_agpr, 0
	.set _ZN2at4cuda3cub17final_scan_kernelILi512ELi16EN3c108BFloat16EEEvPKT1_PS5_S8_li.numbered_sgpr, 48
	.set _ZN2at4cuda3cub17final_scan_kernelILi512ELi16EN3c108BFloat16EEEvPKT1_PS5_S8_li.num_named_barrier, 0
	.set _ZN2at4cuda3cub17final_scan_kernelILi512ELi16EN3c108BFloat16EEEvPKT1_PS5_S8_li.private_seg_size, 0
	.set _ZN2at4cuda3cub17final_scan_kernelILi512ELi16EN3c108BFloat16EEEvPKT1_PS5_S8_li.uses_vcc, 1
	.set _ZN2at4cuda3cub17final_scan_kernelILi512ELi16EN3c108BFloat16EEEvPKT1_PS5_S8_li.uses_flat_scratch, 0
	.set _ZN2at4cuda3cub17final_scan_kernelILi512ELi16EN3c108BFloat16EEEvPKT1_PS5_S8_li.has_dyn_sized_stack, 0
	.set _ZN2at4cuda3cub17final_scan_kernelILi512ELi16EN3c108BFloat16EEEvPKT1_PS5_S8_li.has_recursion, 0
	.set _ZN2at4cuda3cub17final_scan_kernelILi512ELi16EN3c108BFloat16EEEvPKT1_PS5_S8_li.has_indirect_call, 0
	.section	.AMDGPU.csdata,"",@progbits
; Kernel info:
; codeLenInByte = 6308
; TotalNumSgprs: 54
; NumVgprs: 71
; NumAgprs: 0
; TotalNumVgprs: 71
; ScratchSize: 0
; MemoryBound: 0
; FloatMode: 240
; IeeeMode: 1
; LDSByteSize: 16896 bytes/workgroup (compile time only)
; SGPRBlocks: 6
; VGPRBlocks: 8
; NumSGPRsForWavesPerEU: 54
; NumVGPRsForWavesPerEU: 71
; AccumOffset: 72
; Occupancy: 7
; WaveLimiterHint : 1
; COMPUTE_PGM_RSRC2:SCRATCH_EN: 0
; COMPUTE_PGM_RSRC2:USER_SGPR: 2
; COMPUTE_PGM_RSRC2:TRAP_HANDLER: 0
; COMPUTE_PGM_RSRC2:TGID_X_EN: 1
; COMPUTE_PGM_RSRC2:TGID_Y_EN: 0
; COMPUTE_PGM_RSRC2:TGID_Z_EN: 0
; COMPUTE_PGM_RSRC2:TIDIG_COMP_CNT: 0
; COMPUTE_PGM_RSRC3_GFX90A:ACCUM_OFFSET: 17
; COMPUTE_PGM_RSRC3_GFX90A:TG_SPLIT: 0
	.section	.text._ZN7rocprim17ROCPRIM_304000_NS6detail31init_lookback_scan_state_kernelINS1_19lookback_scan_stateIN3c108BFloat16ELb1ELb1EEEEEvT_jjPNS7_10value_typeE,"axG",@progbits,_ZN7rocprim17ROCPRIM_304000_NS6detail31init_lookback_scan_state_kernelINS1_19lookback_scan_stateIN3c108BFloat16ELb1ELb1EEEEEvT_jjPNS7_10value_typeE,comdat
	.protected	_ZN7rocprim17ROCPRIM_304000_NS6detail31init_lookback_scan_state_kernelINS1_19lookback_scan_stateIN3c108BFloat16ELb1ELb1EEEEEvT_jjPNS7_10value_typeE ; -- Begin function _ZN7rocprim17ROCPRIM_304000_NS6detail31init_lookback_scan_state_kernelINS1_19lookback_scan_stateIN3c108BFloat16ELb1ELb1EEEEEvT_jjPNS7_10value_typeE
	.globl	_ZN7rocprim17ROCPRIM_304000_NS6detail31init_lookback_scan_state_kernelINS1_19lookback_scan_stateIN3c108BFloat16ELb1ELb1EEEEEvT_jjPNS7_10value_typeE
	.p2align	8
	.type	_ZN7rocprim17ROCPRIM_304000_NS6detail31init_lookback_scan_state_kernelINS1_19lookback_scan_stateIN3c108BFloat16ELb1ELb1EEEEEvT_jjPNS7_10value_typeE,@function
_ZN7rocprim17ROCPRIM_304000_NS6detail31init_lookback_scan_state_kernelINS1_19lookback_scan_stateIN3c108BFloat16ELb1ELb1EEEEEvT_jjPNS7_10value_typeE: ; @_ZN7rocprim17ROCPRIM_304000_NS6detail31init_lookback_scan_state_kernelINS1_19lookback_scan_stateIN3c108BFloat16ELb1ELb1EEEEEvT_jjPNS7_10value_typeE
; %bb.0:
	s_load_dword s3, s[0:1], 0x24
	s_load_dwordx2 s[8:9], s[0:1], 0x10
	s_load_dwordx4 s[4:7], s[0:1], 0x0
	s_waitcnt lgkmcnt(0)
	s_and_b32 s0, s3, 0xffff
	s_mul_i32 s2, s2, s0
	s_cmp_eq_u64 s[8:9], 0
	v_add_u32_e32 v0, s2, v0
	s_cbranch_scc1 .LBB112_9
; %bb.1:
	s_cmp_lt_u32 s7, s6
	s_cselect_b32 s0, s7, 0
	s_mov_b32 s3, 0
	v_cmp_eq_u32_e32 vcc, s0, v0
	s_and_saveexec_b64 s[0:1], vcc
	s_cbranch_execz .LBB112_8
; %bb.2:
	s_add_i32 s2, s7, 64
	s_lshl_b64 s[2:3], s[2:3], 2
	s_add_u32 s2, s4, s2
	s_addc_u32 s3, s5, s3
	v_mov_b32_e32 v1, 0
	global_load_dword v2, v1, s[2:3] sc1
	s_waitcnt vmcnt(0)
	v_and_b32_e32 v3, 0xff0000, v2
	v_cmp_ne_u32_e32 vcc, 0, v3
	s_cbranch_vccnz .LBB112_7
; %bb.3:
	s_mov_b32 s7, 1
.LBB112_4:                              ; =>This Loop Header: Depth=1
                                        ;     Child Loop BB112_5 Depth 2
	s_mov_b32 s10, s7
.LBB112_5:                              ;   Parent Loop BB112_4 Depth=1
                                        ; =>  This Inner Loop Header: Depth=2
	s_add_i32 s10, s10, -1
	s_cmp_eq_u32 s10, 0
	s_sleep 1
	s_cbranch_scc0 .LBB112_5
; %bb.6:                                ;   in Loop: Header=BB112_4 Depth=1
	global_load_dword v2, v1, s[2:3] sc1
	s_cmp_lt_u32 s7, 32
	s_cselect_b64 s[10:11], -1, 0
	s_cmp_lg_u64 s[10:11], 0
	s_addc_u32 s7, s7, 0
	s_waitcnt vmcnt(0)
	v_and_b32_e32 v3, 0xff0000, v2
	v_cmp_ne_u32_e32 vcc, 0, v3
	s_cbranch_vccz .LBB112_4
.LBB112_7:
	v_mov_b32_e32 v1, 0
	global_store_short v1, v2, s[8:9]
.LBB112_8:
	s_or_b64 exec, exec, s[0:1]
.LBB112_9:
	v_cmp_gt_u32_e32 vcc, s6, v0
	s_and_saveexec_b64 s[0:1], vcc
	s_cbranch_execnz .LBB112_12
; %bb.10:
	s_or_b64 exec, exec, s[0:1]
	v_cmp_gt_u32_e32 vcc, 64, v0
	s_and_saveexec_b64 s[0:1], vcc
	s_cbranch_execnz .LBB112_13
.LBB112_11:
	s_endpgm
.LBB112_12:
	v_add_u32_e32 v2, 64, v0
	v_mov_b32_e32 v3, 0
	v_lshl_add_u64 v[4:5], v[2:3], 2, s[4:5]
	global_store_dword v[4:5], v3, off
	s_or_b64 exec, exec, s[0:1]
	v_cmp_gt_u32_e32 vcc, 64, v0
	s_and_saveexec_b64 s[0:1], vcc
	s_cbranch_execz .LBB112_11
.LBB112_13:
	v_mov_b32_e32 v1, 0
	v_lshl_add_u64 v[0:1], v[0:1], 2, s[4:5]
	v_mov_b32_e32 v2, 0xff0000
	global_store_dword v[0:1], v2, off
	s_endpgm
	.section	.rodata,"a",@progbits
	.p2align	6, 0x0
	.amdhsa_kernel _ZN7rocprim17ROCPRIM_304000_NS6detail31init_lookback_scan_state_kernelINS1_19lookback_scan_stateIN3c108BFloat16ELb1ELb1EEEEEvT_jjPNS7_10value_typeE
		.amdhsa_group_segment_fixed_size 0
		.amdhsa_private_segment_fixed_size 0
		.amdhsa_kernarg_size 280
		.amdhsa_user_sgpr_count 2
		.amdhsa_user_sgpr_dispatch_ptr 0
		.amdhsa_user_sgpr_queue_ptr 0
		.amdhsa_user_sgpr_kernarg_segment_ptr 1
		.amdhsa_user_sgpr_dispatch_id 0
		.amdhsa_user_sgpr_kernarg_preload_length 0
		.amdhsa_user_sgpr_kernarg_preload_offset 0
		.amdhsa_user_sgpr_private_segment_size 0
		.amdhsa_uses_dynamic_stack 0
		.amdhsa_enable_private_segment 0
		.amdhsa_system_sgpr_workgroup_id_x 1
		.amdhsa_system_sgpr_workgroup_id_y 0
		.amdhsa_system_sgpr_workgroup_id_z 0
		.amdhsa_system_sgpr_workgroup_info 0
		.amdhsa_system_vgpr_workitem_id 0
		.amdhsa_next_free_vgpr 6
		.amdhsa_next_free_sgpr 12
		.amdhsa_accum_offset 8
		.amdhsa_reserve_vcc 1
		.amdhsa_float_round_mode_32 0
		.amdhsa_float_round_mode_16_64 0
		.amdhsa_float_denorm_mode_32 3
		.amdhsa_float_denorm_mode_16_64 3
		.amdhsa_dx10_clamp 1
		.amdhsa_ieee_mode 1
		.amdhsa_fp16_overflow 0
		.amdhsa_tg_split 0
		.amdhsa_exception_fp_ieee_invalid_op 0
		.amdhsa_exception_fp_denorm_src 0
		.amdhsa_exception_fp_ieee_div_zero 0
		.amdhsa_exception_fp_ieee_overflow 0
		.amdhsa_exception_fp_ieee_underflow 0
		.amdhsa_exception_fp_ieee_inexact 0
		.amdhsa_exception_int_div_zero 0
	.end_amdhsa_kernel
	.section	.text._ZN7rocprim17ROCPRIM_304000_NS6detail31init_lookback_scan_state_kernelINS1_19lookback_scan_stateIN3c108BFloat16ELb1ELb1EEEEEvT_jjPNS7_10value_typeE,"axG",@progbits,_ZN7rocprim17ROCPRIM_304000_NS6detail31init_lookback_scan_state_kernelINS1_19lookback_scan_stateIN3c108BFloat16ELb1ELb1EEEEEvT_jjPNS7_10value_typeE,comdat
.Lfunc_end112:
	.size	_ZN7rocprim17ROCPRIM_304000_NS6detail31init_lookback_scan_state_kernelINS1_19lookback_scan_stateIN3c108BFloat16ELb1ELb1EEEEEvT_jjPNS7_10value_typeE, .Lfunc_end112-_ZN7rocprim17ROCPRIM_304000_NS6detail31init_lookback_scan_state_kernelINS1_19lookback_scan_stateIN3c108BFloat16ELb1ELb1EEEEEvT_jjPNS7_10value_typeE
                                        ; -- End function
	.set _ZN7rocprim17ROCPRIM_304000_NS6detail31init_lookback_scan_state_kernelINS1_19lookback_scan_stateIN3c108BFloat16ELb1ELb1EEEEEvT_jjPNS7_10value_typeE.num_vgpr, 6
	.set _ZN7rocprim17ROCPRIM_304000_NS6detail31init_lookback_scan_state_kernelINS1_19lookback_scan_stateIN3c108BFloat16ELb1ELb1EEEEEvT_jjPNS7_10value_typeE.num_agpr, 0
	.set _ZN7rocprim17ROCPRIM_304000_NS6detail31init_lookback_scan_state_kernelINS1_19lookback_scan_stateIN3c108BFloat16ELb1ELb1EEEEEvT_jjPNS7_10value_typeE.numbered_sgpr, 12
	.set _ZN7rocprim17ROCPRIM_304000_NS6detail31init_lookback_scan_state_kernelINS1_19lookback_scan_stateIN3c108BFloat16ELb1ELb1EEEEEvT_jjPNS7_10value_typeE.num_named_barrier, 0
	.set _ZN7rocprim17ROCPRIM_304000_NS6detail31init_lookback_scan_state_kernelINS1_19lookback_scan_stateIN3c108BFloat16ELb1ELb1EEEEEvT_jjPNS7_10value_typeE.private_seg_size, 0
	.set _ZN7rocprim17ROCPRIM_304000_NS6detail31init_lookback_scan_state_kernelINS1_19lookback_scan_stateIN3c108BFloat16ELb1ELb1EEEEEvT_jjPNS7_10value_typeE.uses_vcc, 1
	.set _ZN7rocprim17ROCPRIM_304000_NS6detail31init_lookback_scan_state_kernelINS1_19lookback_scan_stateIN3c108BFloat16ELb1ELb1EEEEEvT_jjPNS7_10value_typeE.uses_flat_scratch, 0
	.set _ZN7rocprim17ROCPRIM_304000_NS6detail31init_lookback_scan_state_kernelINS1_19lookback_scan_stateIN3c108BFloat16ELb1ELb1EEEEEvT_jjPNS7_10value_typeE.has_dyn_sized_stack, 0
	.set _ZN7rocprim17ROCPRIM_304000_NS6detail31init_lookback_scan_state_kernelINS1_19lookback_scan_stateIN3c108BFloat16ELb1ELb1EEEEEvT_jjPNS7_10value_typeE.has_recursion, 0
	.set _ZN7rocprim17ROCPRIM_304000_NS6detail31init_lookback_scan_state_kernelINS1_19lookback_scan_stateIN3c108BFloat16ELb1ELb1EEEEEvT_jjPNS7_10value_typeE.has_indirect_call, 0
	.section	.AMDGPU.csdata,"",@progbits
; Kernel info:
; codeLenInByte = 312
; TotalNumSgprs: 18
; NumVgprs: 6
; NumAgprs: 0
; TotalNumVgprs: 6
; ScratchSize: 0
; MemoryBound: 0
; FloatMode: 240
; IeeeMode: 1
; LDSByteSize: 0 bytes/workgroup (compile time only)
; SGPRBlocks: 2
; VGPRBlocks: 0
; NumSGPRsForWavesPerEU: 18
; NumVGPRsForWavesPerEU: 6
; AccumOffset: 8
; Occupancy: 8
; WaveLimiterHint : 0
; COMPUTE_PGM_RSRC2:SCRATCH_EN: 0
; COMPUTE_PGM_RSRC2:USER_SGPR: 2
; COMPUTE_PGM_RSRC2:TRAP_HANDLER: 0
; COMPUTE_PGM_RSRC2:TGID_X_EN: 1
; COMPUTE_PGM_RSRC2:TGID_Y_EN: 0
; COMPUTE_PGM_RSRC2:TGID_Z_EN: 0
; COMPUTE_PGM_RSRC2:TIDIG_COMP_CNT: 0
; COMPUTE_PGM_RSRC3_GFX90A:ACCUM_OFFSET: 1
; COMPUTE_PGM_RSRC3_GFX90A:TG_SPLIT: 0
	.section	.text._ZN7rocprim17ROCPRIM_304000_NS6detail31init_lookback_scan_state_kernelINS1_19lookback_scan_stateIN3c108BFloat16ELb0ELb1EEEEEvT_jjPNS7_10value_typeE,"axG",@progbits,_ZN7rocprim17ROCPRIM_304000_NS6detail31init_lookback_scan_state_kernelINS1_19lookback_scan_stateIN3c108BFloat16ELb0ELb1EEEEEvT_jjPNS7_10value_typeE,comdat
	.protected	_ZN7rocprim17ROCPRIM_304000_NS6detail31init_lookback_scan_state_kernelINS1_19lookback_scan_stateIN3c108BFloat16ELb0ELb1EEEEEvT_jjPNS7_10value_typeE ; -- Begin function _ZN7rocprim17ROCPRIM_304000_NS6detail31init_lookback_scan_state_kernelINS1_19lookback_scan_stateIN3c108BFloat16ELb0ELb1EEEEEvT_jjPNS7_10value_typeE
	.globl	_ZN7rocprim17ROCPRIM_304000_NS6detail31init_lookback_scan_state_kernelINS1_19lookback_scan_stateIN3c108BFloat16ELb0ELb1EEEEEvT_jjPNS7_10value_typeE
	.p2align	8
	.type	_ZN7rocprim17ROCPRIM_304000_NS6detail31init_lookback_scan_state_kernelINS1_19lookback_scan_stateIN3c108BFloat16ELb0ELb1EEEEEvT_jjPNS7_10value_typeE,@function
_ZN7rocprim17ROCPRIM_304000_NS6detail31init_lookback_scan_state_kernelINS1_19lookback_scan_stateIN3c108BFloat16ELb0ELb1EEEEEvT_jjPNS7_10value_typeE: ; @_ZN7rocprim17ROCPRIM_304000_NS6detail31init_lookback_scan_state_kernelINS1_19lookback_scan_stateIN3c108BFloat16ELb0ELb1EEEEEvT_jjPNS7_10value_typeE
; %bb.0:
	s_load_dword s3, s[0:1], 0x24
	s_load_dwordx2 s[8:9], s[0:1], 0x10
	s_load_dwordx4 s[4:7], s[0:1], 0x0
	s_waitcnt lgkmcnt(0)
	s_and_b32 s0, s3, 0xffff
	s_mul_i32 s2, s2, s0
	s_cmp_eq_u64 s[8:9], 0
	v_add_u32_e32 v0, s2, v0
	s_cbranch_scc1 .LBB113_6
; %bb.1:
	s_cmp_lt_u32 s7, s6
	s_cselect_b32 s0, s7, 0
	s_mov_b32 s3, 0
	v_cmp_eq_u32_e32 vcc, s0, v0
	s_and_saveexec_b64 s[0:1], vcc
	s_cbranch_execz .LBB113_5
; %bb.2:
	s_add_i32 s2, s7, 64
	s_lshl_b64 s[2:3], s[2:3], 2
	s_add_u32 s2, s4, s2
	s_addc_u32 s3, s5, s3
	v_mov_b32_e32 v2, 0
	global_load_dword v1, v2, s[2:3] sc1
	s_waitcnt vmcnt(0)
	v_and_b32_e32 v3, 0xff0000, v1
	v_cmp_ne_u32_e32 vcc, 0, v3
	s_cbranch_vccnz .LBB113_4
.LBB113_3:                              ; =>This Inner Loop Header: Depth=1
	global_load_dword v1, v2, s[2:3] sc1
	s_waitcnt vmcnt(0)
	v_and_b32_e32 v3, 0xff0000, v1
	v_cmp_eq_u32_e32 vcc, 0, v3
	s_cbranch_vccnz .LBB113_3
.LBB113_4:
	v_mov_b32_e32 v2, 0
	global_store_short v2, v1, s[8:9]
.LBB113_5:
	s_or_b64 exec, exec, s[0:1]
.LBB113_6:
	v_cmp_gt_u32_e32 vcc, s6, v0
	s_and_saveexec_b64 s[0:1], vcc
	s_cbranch_execnz .LBB113_9
; %bb.7:
	s_or_b64 exec, exec, s[0:1]
	v_cmp_gt_u32_e32 vcc, 64, v0
	s_and_saveexec_b64 s[0:1], vcc
	s_cbranch_execnz .LBB113_10
.LBB113_8:
	s_endpgm
.LBB113_9:
	v_add_u32_e32 v2, 64, v0
	v_mov_b32_e32 v3, 0
	v_lshl_add_u64 v[4:5], v[2:3], 2, s[4:5]
	global_store_dword v[4:5], v3, off
	s_or_b64 exec, exec, s[0:1]
	v_cmp_gt_u32_e32 vcc, 64, v0
	s_and_saveexec_b64 s[0:1], vcc
	s_cbranch_execz .LBB113_8
.LBB113_10:
	v_mov_b32_e32 v1, 0
	v_lshl_add_u64 v[0:1], v[0:1], 2, s[4:5]
	v_mov_b32_e32 v2, 0xff0000
	global_store_dword v[0:1], v2, off
	s_endpgm
	.section	.rodata,"a",@progbits
	.p2align	6, 0x0
	.amdhsa_kernel _ZN7rocprim17ROCPRIM_304000_NS6detail31init_lookback_scan_state_kernelINS1_19lookback_scan_stateIN3c108BFloat16ELb0ELb1EEEEEvT_jjPNS7_10value_typeE
		.amdhsa_group_segment_fixed_size 0
		.amdhsa_private_segment_fixed_size 0
		.amdhsa_kernarg_size 280
		.amdhsa_user_sgpr_count 2
		.amdhsa_user_sgpr_dispatch_ptr 0
		.amdhsa_user_sgpr_queue_ptr 0
		.amdhsa_user_sgpr_kernarg_segment_ptr 1
		.amdhsa_user_sgpr_dispatch_id 0
		.amdhsa_user_sgpr_kernarg_preload_length 0
		.amdhsa_user_sgpr_kernarg_preload_offset 0
		.amdhsa_user_sgpr_private_segment_size 0
		.amdhsa_uses_dynamic_stack 0
		.amdhsa_enable_private_segment 0
		.amdhsa_system_sgpr_workgroup_id_x 1
		.amdhsa_system_sgpr_workgroup_id_y 0
		.amdhsa_system_sgpr_workgroup_id_z 0
		.amdhsa_system_sgpr_workgroup_info 0
		.amdhsa_system_vgpr_workitem_id 0
		.amdhsa_next_free_vgpr 6
		.amdhsa_next_free_sgpr 10
		.amdhsa_accum_offset 8
		.amdhsa_reserve_vcc 1
		.amdhsa_float_round_mode_32 0
		.amdhsa_float_round_mode_16_64 0
		.amdhsa_float_denorm_mode_32 3
		.amdhsa_float_denorm_mode_16_64 3
		.amdhsa_dx10_clamp 1
		.amdhsa_ieee_mode 1
		.amdhsa_fp16_overflow 0
		.amdhsa_tg_split 0
		.amdhsa_exception_fp_ieee_invalid_op 0
		.amdhsa_exception_fp_denorm_src 0
		.amdhsa_exception_fp_ieee_div_zero 0
		.amdhsa_exception_fp_ieee_overflow 0
		.amdhsa_exception_fp_ieee_underflow 0
		.amdhsa_exception_fp_ieee_inexact 0
		.amdhsa_exception_int_div_zero 0
	.end_amdhsa_kernel
	.section	.text._ZN7rocprim17ROCPRIM_304000_NS6detail31init_lookback_scan_state_kernelINS1_19lookback_scan_stateIN3c108BFloat16ELb0ELb1EEEEEvT_jjPNS7_10value_typeE,"axG",@progbits,_ZN7rocprim17ROCPRIM_304000_NS6detail31init_lookback_scan_state_kernelINS1_19lookback_scan_stateIN3c108BFloat16ELb0ELb1EEEEEvT_jjPNS7_10value_typeE,comdat
.Lfunc_end113:
	.size	_ZN7rocprim17ROCPRIM_304000_NS6detail31init_lookback_scan_state_kernelINS1_19lookback_scan_stateIN3c108BFloat16ELb0ELb1EEEEEvT_jjPNS7_10value_typeE, .Lfunc_end113-_ZN7rocprim17ROCPRIM_304000_NS6detail31init_lookback_scan_state_kernelINS1_19lookback_scan_stateIN3c108BFloat16ELb0ELb1EEEEEvT_jjPNS7_10value_typeE
                                        ; -- End function
	.set _ZN7rocprim17ROCPRIM_304000_NS6detail31init_lookback_scan_state_kernelINS1_19lookback_scan_stateIN3c108BFloat16ELb0ELb1EEEEEvT_jjPNS7_10value_typeE.num_vgpr, 6
	.set _ZN7rocprim17ROCPRIM_304000_NS6detail31init_lookback_scan_state_kernelINS1_19lookback_scan_stateIN3c108BFloat16ELb0ELb1EEEEEvT_jjPNS7_10value_typeE.num_agpr, 0
	.set _ZN7rocprim17ROCPRIM_304000_NS6detail31init_lookback_scan_state_kernelINS1_19lookback_scan_stateIN3c108BFloat16ELb0ELb1EEEEEvT_jjPNS7_10value_typeE.numbered_sgpr, 10
	.set _ZN7rocprim17ROCPRIM_304000_NS6detail31init_lookback_scan_state_kernelINS1_19lookback_scan_stateIN3c108BFloat16ELb0ELb1EEEEEvT_jjPNS7_10value_typeE.num_named_barrier, 0
	.set _ZN7rocprim17ROCPRIM_304000_NS6detail31init_lookback_scan_state_kernelINS1_19lookback_scan_stateIN3c108BFloat16ELb0ELb1EEEEEvT_jjPNS7_10value_typeE.private_seg_size, 0
	.set _ZN7rocprim17ROCPRIM_304000_NS6detail31init_lookback_scan_state_kernelINS1_19lookback_scan_stateIN3c108BFloat16ELb0ELb1EEEEEvT_jjPNS7_10value_typeE.uses_vcc, 1
	.set _ZN7rocprim17ROCPRIM_304000_NS6detail31init_lookback_scan_state_kernelINS1_19lookback_scan_stateIN3c108BFloat16ELb0ELb1EEEEEvT_jjPNS7_10value_typeE.uses_flat_scratch, 0
	.set _ZN7rocprim17ROCPRIM_304000_NS6detail31init_lookback_scan_state_kernelINS1_19lookback_scan_stateIN3c108BFloat16ELb0ELb1EEEEEvT_jjPNS7_10value_typeE.has_dyn_sized_stack, 0
	.set _ZN7rocprim17ROCPRIM_304000_NS6detail31init_lookback_scan_state_kernelINS1_19lookback_scan_stateIN3c108BFloat16ELb0ELb1EEEEEvT_jjPNS7_10value_typeE.has_recursion, 0
	.set _ZN7rocprim17ROCPRIM_304000_NS6detail31init_lookback_scan_state_kernelINS1_19lookback_scan_stateIN3c108BFloat16ELb0ELb1EEEEEvT_jjPNS7_10value_typeE.has_indirect_call, 0
	.section	.AMDGPU.csdata,"",@progbits
; Kernel info:
; codeLenInByte = 272
; TotalNumSgprs: 16
; NumVgprs: 6
; NumAgprs: 0
; TotalNumVgprs: 6
; ScratchSize: 0
; MemoryBound: 0
; FloatMode: 240
; IeeeMode: 1
; LDSByteSize: 0 bytes/workgroup (compile time only)
; SGPRBlocks: 1
; VGPRBlocks: 0
; NumSGPRsForWavesPerEU: 16
; NumVGPRsForWavesPerEU: 6
; AccumOffset: 8
; Occupancy: 8
; WaveLimiterHint : 0
; COMPUTE_PGM_RSRC2:SCRATCH_EN: 0
; COMPUTE_PGM_RSRC2:USER_SGPR: 2
; COMPUTE_PGM_RSRC2:TRAP_HANDLER: 0
; COMPUTE_PGM_RSRC2:TGID_X_EN: 1
; COMPUTE_PGM_RSRC2:TGID_Y_EN: 0
; COMPUTE_PGM_RSRC2:TGID_Z_EN: 0
; COMPUTE_PGM_RSRC2:TIDIG_COMP_CNT: 0
; COMPUTE_PGM_RSRC3_GFX90A:ACCUM_OFFSET: 1
; COMPUTE_PGM_RSRC3_GFX90A:TG_SPLIT: 0
	.section	.text._ZN7rocprim17ROCPRIM_304000_NS6detail20lookback_scan_kernelILNS1_25lookback_scan_determinismE0ELb0ENS1_19wrapped_scan_configINS0_14default_configEN3c108BFloat16EEEPKS7_PS7_St4plusIS7_ES7_S7_NS1_19lookback_scan_stateIS7_Lb1ELb1EEEEEvT2_T3_mT5_T4_T7_jPT6_SM_bb,"axG",@progbits,_ZN7rocprim17ROCPRIM_304000_NS6detail20lookback_scan_kernelILNS1_25lookback_scan_determinismE0ELb0ENS1_19wrapped_scan_configINS0_14default_configEN3c108BFloat16EEEPKS7_PS7_St4plusIS7_ES7_S7_NS1_19lookback_scan_stateIS7_Lb1ELb1EEEEEvT2_T3_mT5_T4_T7_jPT6_SM_bb,comdat
	.protected	_ZN7rocprim17ROCPRIM_304000_NS6detail20lookback_scan_kernelILNS1_25lookback_scan_determinismE0ELb0ENS1_19wrapped_scan_configINS0_14default_configEN3c108BFloat16EEEPKS7_PS7_St4plusIS7_ES7_S7_NS1_19lookback_scan_stateIS7_Lb1ELb1EEEEEvT2_T3_mT5_T4_T7_jPT6_SM_bb ; -- Begin function _ZN7rocprim17ROCPRIM_304000_NS6detail20lookback_scan_kernelILNS1_25lookback_scan_determinismE0ELb0ENS1_19wrapped_scan_configINS0_14default_configEN3c108BFloat16EEEPKS7_PS7_St4plusIS7_ES7_S7_NS1_19lookback_scan_stateIS7_Lb1ELb1EEEEEvT2_T3_mT5_T4_T7_jPT6_SM_bb
	.globl	_ZN7rocprim17ROCPRIM_304000_NS6detail20lookback_scan_kernelILNS1_25lookback_scan_determinismE0ELb0ENS1_19wrapped_scan_configINS0_14default_configEN3c108BFloat16EEEPKS7_PS7_St4plusIS7_ES7_S7_NS1_19lookback_scan_stateIS7_Lb1ELb1EEEEEvT2_T3_mT5_T4_T7_jPT6_SM_bb
	.p2align	8
	.type	_ZN7rocprim17ROCPRIM_304000_NS6detail20lookback_scan_kernelILNS1_25lookback_scan_determinismE0ELb0ENS1_19wrapped_scan_configINS0_14default_configEN3c108BFloat16EEEPKS7_PS7_St4plusIS7_ES7_S7_NS1_19lookback_scan_stateIS7_Lb1ELb1EEEEEvT2_T3_mT5_T4_T7_jPT6_SM_bb,@function
_ZN7rocprim17ROCPRIM_304000_NS6detail20lookback_scan_kernelILNS1_25lookback_scan_determinismE0ELb0ENS1_19wrapped_scan_configINS0_14default_configEN3c108BFloat16EEEPKS7_PS7_St4plusIS7_ES7_S7_NS1_19lookback_scan_stateIS7_Lb1ELb1EEEEEvT2_T3_mT5_T4_T7_jPT6_SM_bb: ; @_ZN7rocprim17ROCPRIM_304000_NS6detail20lookback_scan_kernelILNS1_25lookback_scan_determinismE0ELb0ENS1_19wrapped_scan_configINS0_14default_configEN3c108BFloat16EEEPKS7_PS7_St4plusIS7_ES7_S7_NS1_19lookback_scan_stateIS7_Lb1ELb1EEEEEvT2_T3_mT5_T4_T7_jPT6_SM_bb
; %bb.0:
	s_endpgm
	.section	.rodata,"a",@progbits
	.p2align	6, 0x0
	.amdhsa_kernel _ZN7rocprim17ROCPRIM_304000_NS6detail20lookback_scan_kernelILNS1_25lookback_scan_determinismE0ELb0ENS1_19wrapped_scan_configINS0_14default_configEN3c108BFloat16EEEPKS7_PS7_St4plusIS7_ES7_S7_NS1_19lookback_scan_stateIS7_Lb1ELb1EEEEEvT2_T3_mT5_T4_T7_jPT6_SM_bb
		.amdhsa_group_segment_fixed_size 0
		.amdhsa_private_segment_fixed_size 0
		.amdhsa_kernarg_size 68
		.amdhsa_user_sgpr_count 2
		.amdhsa_user_sgpr_dispatch_ptr 0
		.amdhsa_user_sgpr_queue_ptr 0
		.amdhsa_user_sgpr_kernarg_segment_ptr 1
		.amdhsa_user_sgpr_dispatch_id 0
		.amdhsa_user_sgpr_kernarg_preload_length 0
		.amdhsa_user_sgpr_kernarg_preload_offset 0
		.amdhsa_user_sgpr_private_segment_size 0
		.amdhsa_uses_dynamic_stack 0
		.amdhsa_enable_private_segment 0
		.amdhsa_system_sgpr_workgroup_id_x 1
		.amdhsa_system_sgpr_workgroup_id_y 0
		.amdhsa_system_sgpr_workgroup_id_z 0
		.amdhsa_system_sgpr_workgroup_info 0
		.amdhsa_system_vgpr_workitem_id 0
		.amdhsa_next_free_vgpr 1
		.amdhsa_next_free_sgpr 0
		.amdhsa_accum_offset 4
		.amdhsa_reserve_vcc 0
		.amdhsa_float_round_mode_32 0
		.amdhsa_float_round_mode_16_64 0
		.amdhsa_float_denorm_mode_32 3
		.amdhsa_float_denorm_mode_16_64 3
		.amdhsa_dx10_clamp 1
		.amdhsa_ieee_mode 1
		.amdhsa_fp16_overflow 0
		.amdhsa_tg_split 0
		.amdhsa_exception_fp_ieee_invalid_op 0
		.amdhsa_exception_fp_denorm_src 0
		.amdhsa_exception_fp_ieee_div_zero 0
		.amdhsa_exception_fp_ieee_overflow 0
		.amdhsa_exception_fp_ieee_underflow 0
		.amdhsa_exception_fp_ieee_inexact 0
		.amdhsa_exception_int_div_zero 0
	.end_amdhsa_kernel
	.section	.text._ZN7rocprim17ROCPRIM_304000_NS6detail20lookback_scan_kernelILNS1_25lookback_scan_determinismE0ELb0ENS1_19wrapped_scan_configINS0_14default_configEN3c108BFloat16EEEPKS7_PS7_St4plusIS7_ES7_S7_NS1_19lookback_scan_stateIS7_Lb1ELb1EEEEEvT2_T3_mT5_T4_T7_jPT6_SM_bb,"axG",@progbits,_ZN7rocprim17ROCPRIM_304000_NS6detail20lookback_scan_kernelILNS1_25lookback_scan_determinismE0ELb0ENS1_19wrapped_scan_configINS0_14default_configEN3c108BFloat16EEEPKS7_PS7_St4plusIS7_ES7_S7_NS1_19lookback_scan_stateIS7_Lb1ELb1EEEEEvT2_T3_mT5_T4_T7_jPT6_SM_bb,comdat
.Lfunc_end114:
	.size	_ZN7rocprim17ROCPRIM_304000_NS6detail20lookback_scan_kernelILNS1_25lookback_scan_determinismE0ELb0ENS1_19wrapped_scan_configINS0_14default_configEN3c108BFloat16EEEPKS7_PS7_St4plusIS7_ES7_S7_NS1_19lookback_scan_stateIS7_Lb1ELb1EEEEEvT2_T3_mT5_T4_T7_jPT6_SM_bb, .Lfunc_end114-_ZN7rocprim17ROCPRIM_304000_NS6detail20lookback_scan_kernelILNS1_25lookback_scan_determinismE0ELb0ENS1_19wrapped_scan_configINS0_14default_configEN3c108BFloat16EEEPKS7_PS7_St4plusIS7_ES7_S7_NS1_19lookback_scan_stateIS7_Lb1ELb1EEEEEvT2_T3_mT5_T4_T7_jPT6_SM_bb
                                        ; -- End function
	.set _ZN7rocprim17ROCPRIM_304000_NS6detail20lookback_scan_kernelILNS1_25lookback_scan_determinismE0ELb0ENS1_19wrapped_scan_configINS0_14default_configEN3c108BFloat16EEEPKS7_PS7_St4plusIS7_ES7_S7_NS1_19lookback_scan_stateIS7_Lb1ELb1EEEEEvT2_T3_mT5_T4_T7_jPT6_SM_bb.num_vgpr, 0
	.set _ZN7rocprim17ROCPRIM_304000_NS6detail20lookback_scan_kernelILNS1_25lookback_scan_determinismE0ELb0ENS1_19wrapped_scan_configINS0_14default_configEN3c108BFloat16EEEPKS7_PS7_St4plusIS7_ES7_S7_NS1_19lookback_scan_stateIS7_Lb1ELb1EEEEEvT2_T3_mT5_T4_T7_jPT6_SM_bb.num_agpr, 0
	.set _ZN7rocprim17ROCPRIM_304000_NS6detail20lookback_scan_kernelILNS1_25lookback_scan_determinismE0ELb0ENS1_19wrapped_scan_configINS0_14default_configEN3c108BFloat16EEEPKS7_PS7_St4plusIS7_ES7_S7_NS1_19lookback_scan_stateIS7_Lb1ELb1EEEEEvT2_T3_mT5_T4_T7_jPT6_SM_bb.numbered_sgpr, 0
	.set _ZN7rocprim17ROCPRIM_304000_NS6detail20lookback_scan_kernelILNS1_25lookback_scan_determinismE0ELb0ENS1_19wrapped_scan_configINS0_14default_configEN3c108BFloat16EEEPKS7_PS7_St4plusIS7_ES7_S7_NS1_19lookback_scan_stateIS7_Lb1ELb1EEEEEvT2_T3_mT5_T4_T7_jPT6_SM_bb.num_named_barrier, 0
	.set _ZN7rocprim17ROCPRIM_304000_NS6detail20lookback_scan_kernelILNS1_25lookback_scan_determinismE0ELb0ENS1_19wrapped_scan_configINS0_14default_configEN3c108BFloat16EEEPKS7_PS7_St4plusIS7_ES7_S7_NS1_19lookback_scan_stateIS7_Lb1ELb1EEEEEvT2_T3_mT5_T4_T7_jPT6_SM_bb.private_seg_size, 0
	.set _ZN7rocprim17ROCPRIM_304000_NS6detail20lookback_scan_kernelILNS1_25lookback_scan_determinismE0ELb0ENS1_19wrapped_scan_configINS0_14default_configEN3c108BFloat16EEEPKS7_PS7_St4plusIS7_ES7_S7_NS1_19lookback_scan_stateIS7_Lb1ELb1EEEEEvT2_T3_mT5_T4_T7_jPT6_SM_bb.uses_vcc, 0
	.set _ZN7rocprim17ROCPRIM_304000_NS6detail20lookback_scan_kernelILNS1_25lookback_scan_determinismE0ELb0ENS1_19wrapped_scan_configINS0_14default_configEN3c108BFloat16EEEPKS7_PS7_St4plusIS7_ES7_S7_NS1_19lookback_scan_stateIS7_Lb1ELb1EEEEEvT2_T3_mT5_T4_T7_jPT6_SM_bb.uses_flat_scratch, 0
	.set _ZN7rocprim17ROCPRIM_304000_NS6detail20lookback_scan_kernelILNS1_25lookback_scan_determinismE0ELb0ENS1_19wrapped_scan_configINS0_14default_configEN3c108BFloat16EEEPKS7_PS7_St4plusIS7_ES7_S7_NS1_19lookback_scan_stateIS7_Lb1ELb1EEEEEvT2_T3_mT5_T4_T7_jPT6_SM_bb.has_dyn_sized_stack, 0
	.set _ZN7rocprim17ROCPRIM_304000_NS6detail20lookback_scan_kernelILNS1_25lookback_scan_determinismE0ELb0ENS1_19wrapped_scan_configINS0_14default_configEN3c108BFloat16EEEPKS7_PS7_St4plusIS7_ES7_S7_NS1_19lookback_scan_stateIS7_Lb1ELb1EEEEEvT2_T3_mT5_T4_T7_jPT6_SM_bb.has_recursion, 0
	.set _ZN7rocprim17ROCPRIM_304000_NS6detail20lookback_scan_kernelILNS1_25lookback_scan_determinismE0ELb0ENS1_19wrapped_scan_configINS0_14default_configEN3c108BFloat16EEEPKS7_PS7_St4plusIS7_ES7_S7_NS1_19lookback_scan_stateIS7_Lb1ELb1EEEEEvT2_T3_mT5_T4_T7_jPT6_SM_bb.has_indirect_call, 0
	.section	.AMDGPU.csdata,"",@progbits
; Kernel info:
; codeLenInByte = 4
; TotalNumSgprs: 6
; NumVgprs: 0
; NumAgprs: 0
; TotalNumVgprs: 0
; ScratchSize: 0
; MemoryBound: 0
; FloatMode: 240
; IeeeMode: 1
; LDSByteSize: 0 bytes/workgroup (compile time only)
; SGPRBlocks: 0
; VGPRBlocks: 0
; NumSGPRsForWavesPerEU: 6
; NumVGPRsForWavesPerEU: 1
; AccumOffset: 4
; Occupancy: 8
; WaveLimiterHint : 0
; COMPUTE_PGM_RSRC2:SCRATCH_EN: 0
; COMPUTE_PGM_RSRC2:USER_SGPR: 2
; COMPUTE_PGM_RSRC2:TRAP_HANDLER: 0
; COMPUTE_PGM_RSRC2:TGID_X_EN: 1
; COMPUTE_PGM_RSRC2:TGID_Y_EN: 0
; COMPUTE_PGM_RSRC2:TGID_Z_EN: 0
; COMPUTE_PGM_RSRC2:TIDIG_COMP_CNT: 0
; COMPUTE_PGM_RSRC3_GFX90A:ACCUM_OFFSET: 0
; COMPUTE_PGM_RSRC3_GFX90A:TG_SPLIT: 0
	.section	.text._ZN7rocprim17ROCPRIM_304000_NS6detail20lookback_scan_kernelILNS1_25lookback_scan_determinismE0ELb0ENS1_19wrapped_scan_configINS0_14default_configEN3c108BFloat16EEEPKS7_PS7_St4plusIS7_ES7_S7_NS1_19lookback_scan_stateIS7_Lb0ELb1EEEEEvT2_T3_mT5_T4_T7_jPT6_SM_bb,"axG",@progbits,_ZN7rocprim17ROCPRIM_304000_NS6detail20lookback_scan_kernelILNS1_25lookback_scan_determinismE0ELb0ENS1_19wrapped_scan_configINS0_14default_configEN3c108BFloat16EEEPKS7_PS7_St4plusIS7_ES7_S7_NS1_19lookback_scan_stateIS7_Lb0ELb1EEEEEvT2_T3_mT5_T4_T7_jPT6_SM_bb,comdat
	.protected	_ZN7rocprim17ROCPRIM_304000_NS6detail20lookback_scan_kernelILNS1_25lookback_scan_determinismE0ELb0ENS1_19wrapped_scan_configINS0_14default_configEN3c108BFloat16EEEPKS7_PS7_St4plusIS7_ES7_S7_NS1_19lookback_scan_stateIS7_Lb0ELb1EEEEEvT2_T3_mT5_T4_T7_jPT6_SM_bb ; -- Begin function _ZN7rocprim17ROCPRIM_304000_NS6detail20lookback_scan_kernelILNS1_25lookback_scan_determinismE0ELb0ENS1_19wrapped_scan_configINS0_14default_configEN3c108BFloat16EEEPKS7_PS7_St4plusIS7_ES7_S7_NS1_19lookback_scan_stateIS7_Lb0ELb1EEEEEvT2_T3_mT5_T4_T7_jPT6_SM_bb
	.globl	_ZN7rocprim17ROCPRIM_304000_NS6detail20lookback_scan_kernelILNS1_25lookback_scan_determinismE0ELb0ENS1_19wrapped_scan_configINS0_14default_configEN3c108BFloat16EEEPKS7_PS7_St4plusIS7_ES7_S7_NS1_19lookback_scan_stateIS7_Lb0ELb1EEEEEvT2_T3_mT5_T4_T7_jPT6_SM_bb
	.p2align	8
	.type	_ZN7rocprim17ROCPRIM_304000_NS6detail20lookback_scan_kernelILNS1_25lookback_scan_determinismE0ELb0ENS1_19wrapped_scan_configINS0_14default_configEN3c108BFloat16EEEPKS7_PS7_St4plusIS7_ES7_S7_NS1_19lookback_scan_stateIS7_Lb0ELb1EEEEEvT2_T3_mT5_T4_T7_jPT6_SM_bb,@function
_ZN7rocprim17ROCPRIM_304000_NS6detail20lookback_scan_kernelILNS1_25lookback_scan_determinismE0ELb0ENS1_19wrapped_scan_configINS0_14default_configEN3c108BFloat16EEEPKS7_PS7_St4plusIS7_ES7_S7_NS1_19lookback_scan_stateIS7_Lb0ELb1EEEEEvT2_T3_mT5_T4_T7_jPT6_SM_bb: ; @_ZN7rocprim17ROCPRIM_304000_NS6detail20lookback_scan_kernelILNS1_25lookback_scan_determinismE0ELb0ENS1_19wrapped_scan_configINS0_14default_configEN3c108BFloat16EEEPKS7_PS7_St4plusIS7_ES7_S7_NS1_19lookback_scan_stateIS7_Lb0ELb1EEEEEvT2_T3_mT5_T4_T7_jPT6_SM_bb
; %bb.0:
	s_load_dword s3, s[0:1], 0x28
	s_load_dwordx4 s[8:11], s[0:1], 0x0
	s_load_dwordx2 s[4:5], s[0:1], 0x10
	s_mul_i32 s6, s2, 0x700
	s_mov_b32 s7, 0
	s_waitcnt lgkmcnt(0)
	s_add_i32 s3, s3, -1
	s_mul_i32 s12, s3, 0x700
	s_sub_u32 s20, s4, s12
	s_subb_u32 s21, s5, 0
	s_cmp_lg_u32 s2, s3
	s_cselect_b64 s[16:17], -1, 0
	s_lshl_b64 s[18:19], s[6:7], 1
	s_add_u32 s6, s8, s18
	s_addc_u32 s7, s9, s19
	s_mov_b64 s[4:5], -1
	s_and_b64 vcc, exec, s[16:17]
	v_lshlrev_b32_e32 v2, 1, v0
	s_cbranch_vccz .LBB115_2
; %bb.1:
	global_load_ushort v1, v2, s[6:7]
	global_load_ushort v3, v2, s[6:7] offset:256
	global_load_ushort v4, v2, s[6:7] offset:512
	;; [unrolled: 1-line block ×13, first 2 shown]
	s_mov_b64 s[4:5], 0
	s_waitcnt vmcnt(13)
	ds_write_b16 v2, v1
	s_waitcnt vmcnt(12)
	ds_write_b16 v2, v3 offset:256
	s_waitcnt vmcnt(11)
	ds_write_b16 v2, v4 offset:512
	;; [unrolled: 2-line block ×13, first 2 shown]
	s_waitcnt lgkmcnt(0)
	s_barrier
.LBB115_2:
	s_andn2_b64 vcc, exec, s[4:5]
	v_cmp_gt_u32_e64 s[4:5], s20, v0
	s_cbranch_vccnz .LBB115_32
; %bb.3:
	v_mov_b32_e32 v3, 0
	global_load_ushort v1, v3, s[6:7]
	v_lshl_add_u64 v[4:5], s[6:7], 0, v[2:3]
	s_waitcnt vmcnt(0)
	v_mov_b32_e32 v3, v1
	s_and_saveexec_b64 s[6:7], s[4:5]
	s_cbranch_execz .LBB115_5
; %bb.4:
	global_load_ushort v3, v[4:5], off
.LBB115_5:
	s_or_b64 exec, exec, s[6:7]
	v_or_b32_e32 v6, 0x80, v0
	v_cmp_gt_u32_e32 vcc, s20, v6
	v_mov_b32_e32 v6, v1
	s_and_saveexec_b64 s[4:5], vcc
	s_cbranch_execz .LBB115_7
; %bb.6:
	global_load_ushort v6, v[4:5], off offset:256
.LBB115_7:
	s_or_b64 exec, exec, s[4:5]
	v_or_b32_e32 v7, 0x100, v0
	v_cmp_gt_u32_e32 vcc, s20, v7
	v_mov_b32_e32 v7, v1
	s_and_saveexec_b64 s[4:5], vcc
	s_cbranch_execz .LBB115_9
; %bb.8:
	global_load_ushort v7, v[4:5], off offset:512
.LBB115_9:
	;; [unrolled: 9-line block ×12, first 2 shown]
	s_or_b64 exec, exec, s[4:5]
	v_or_b32_e32 v18, 0x680, v0
	v_cmp_gt_u32_e32 vcc, s20, v18
	s_and_saveexec_b64 s[4:5], vcc
	s_cbranch_execz .LBB115_31
; %bb.30:
	global_load_ushort v1, v[4:5], off offset:3328
.LBB115_31:
	s_or_b64 exec, exec, s[4:5]
	s_waitcnt vmcnt(0)
	ds_write_b16 v2, v3
	ds_write_b16 v2, v6 offset:256
	ds_write_b16 v2, v7 offset:512
	;; [unrolled: 1-line block ×13, first 2 shown]
	s_waitcnt lgkmcnt(0)
	s_barrier
.LBB115_32:
	v_mul_u32_u24_e32 v1, 28, v0
	ds_read2_b32 v[8:9], v1 offset1:1
	ds_read2_b32 v[6:7], v1 offset0:2 offset1:3
	ds_read2_b32 v[4:5], v1 offset0:4 offset1:5
	ds_read_b32 v16, v1 offset:24
	s_load_dwordx2 s[8:9], s[0:1], 0x20
	s_cmp_lg_u32 s2, 0
	v_mbcnt_lo_u32_b32 v3, -1, 0
	s_waitcnt lgkmcnt(0)
	s_barrier
	s_cbranch_scc0 .LBB115_92
; %bb.33:
	v_and_b32_e32 v17, 0xffff0000, v8
	v_lshlrev_b32_e32 v30, 16, v8
	v_add_f32_e32 v10, v17, v30
	v_bfe_u32 v11, v10, 16, 1
	s_movk_i32 s3, 0x7fff
	v_add3_u32 v11, v10, v11, s3
	v_and_b32_e32 v11, 0xffff0000, v11
	v_mov_b32_e32 v12, 0x7fc00000
	v_cmp_o_f32_e32 vcc, v10, v10
	v_mov_b32_e32 v14, 0x7fc0
	s_nop 0
	v_cndmask_b32_e32 v10, v12, v11, vcc
	v_mov_b32_e32 v11, 16
	v_lshlrev_b32_sdwa v18, v11, v9 dst_sel:DWORD dst_unused:UNUSED_PAD src0_sel:DWORD src1_sel:WORD_0
	v_add_f32_e32 v10, v10, v18
	v_bfe_u32 v13, v10, 16, 1
	v_add3_u32 v13, v10, v13, s3
	v_and_b32_e32 v13, 0xffff0000, v13
	v_cmp_o_f32_e32 vcc, v10, v10
	v_lshlrev_b32_sdwa v19, v11, v9 dst_sel:DWORD dst_unused:UNUSED_PAD src0_sel:DWORD src1_sel:WORD_1
	v_lshlrev_b32_sdwa v20, v11, v6 dst_sel:DWORD dst_unused:UNUSED_PAD src0_sel:DWORD src1_sel:WORD_0
	v_cndmask_b32_e32 v10, v12, v13, vcc
	v_add_f32_e32 v10, v10, v19
	v_bfe_u32 v13, v10, 16, 1
	v_add3_u32 v13, v10, v13, s3
	v_and_b32_e32 v13, 0xffff0000, v13
	v_cmp_o_f32_e32 vcc, v10, v10
	v_lshlrev_b32_sdwa v21, v11, v6 dst_sel:DWORD dst_unused:UNUSED_PAD src0_sel:DWORD src1_sel:WORD_1
	v_lshlrev_b32_sdwa v22, v11, v7 dst_sel:DWORD dst_unused:UNUSED_PAD src0_sel:DWORD src1_sel:WORD_0
	v_cndmask_b32_e32 v10, v12, v13, vcc
	;; [unrolled: 8-line block ×5, first 2 shown]
	v_add_f32_e32 v10, v10, v23
	v_bfe_u32 v13, v10, 16, 1
	v_add3_u32 v13, v10, v13, s3
	v_and_b32_e32 v13, 0xffff0000, v13
	v_cmp_o_f32_e32 vcc, v10, v10
	v_lshlrev_b32_sdwa v29, v11, v16 dst_sel:DWORD dst_unused:UNUSED_PAD src0_sel:DWORD src1_sel:WORD_1
	s_nop 0
	v_cndmask_b32_e32 v10, v12, v13, vcc
	v_add_f32_e32 v10, v10, v24
	v_bfe_u32 v13, v10, 16, 1
	v_add3_u32 v13, v10, v13, s3
	v_and_b32_e32 v13, 0xffff0000, v13
	v_cmp_o_f32_e32 vcc, v10, v10
	s_nop 1
	v_cndmask_b32_e32 v10, v12, v13, vcc
	v_add_f32_e32 v10, v10, v25
	v_bfe_u32 v13, v10, 16, 1
	v_add3_u32 v13, v10, v13, s3
	v_and_b32_e32 v13, 0xffff0000, v13
	v_cmp_o_f32_e32 vcc, v10, v10
	;; [unrolled: 7-line block ×5, first 2 shown]
	s_nop 1
	v_cndmask_b32_e32 v10, v12, v13, vcc
	v_add_f32_e32 v10, v10, v29
	v_bfe_u32 v11, v10, 16, 1
	v_add3_u32 v11, v10, v11, s3
	v_lshrrev_b32_e32 v11, 16, v11
	v_cmp_o_f32_e32 vcc, v10, v10
	s_nop 1
	v_cndmask_b32_e32 v10, v14, v11, vcc
	v_mbcnt_hi_u32_b32 v11, -1, v3
	v_and_b32_e32 v13, 15, v11
	v_and_b32_e32 v12, 0xffff, v10
	v_cmp_ne_u32_e32 vcc, 0, v13
	s_nop 0
	v_mov_b32_dpp v15, v12 row_shr:1 row_mask:0xf bank_mask:0xf
	s_and_saveexec_b64 s[4:5], vcc
; %bb.34:
	v_lshlrev_b32_e32 v10, 16, v12
	v_lshlrev_b32_e32 v12, 16, v15
	v_add_f32_e32 v10, v12, v10
	v_bfe_u32 v12, v10, 16, 1
	v_add3_u32 v12, v10, v12, s3
	v_cmp_o_f32_e32 vcc, v10, v10
	s_nop 1
	v_cndmask_b32_sdwa v10, v14, v12, vcc dst_sel:DWORD dst_unused:UNUSED_PAD src0_sel:DWORD src1_sel:WORD_1
	v_and_b32_e32 v12, 0xffff, v10
; %bb.35:
	s_or_b64 exec, exec, s[4:5]
	s_nop 0
	v_mov_b32_dpp v14, v12 row_shr:2 row_mask:0xf bank_mask:0xf
	v_cmp_lt_u32_e32 vcc, 1, v13
	s_and_saveexec_b64 s[4:5], vcc
; %bb.36:
	v_lshlrev_b32_e32 v10, 16, v12
	v_lshlrev_b32_e32 v12, 16, v14
	v_add_f32_e32 v10, v12, v10
	v_bfe_u32 v12, v10, 16, 1
	v_add3_u32 v12, v10, v12, s3
	v_cmp_o_f32_e32 vcc, v10, v10
	v_mov_b32_e32 v10, 0x7fc0
	s_nop 0
	v_cndmask_b32_sdwa v10, v10, v12, vcc dst_sel:DWORD dst_unused:UNUSED_PAD src0_sel:DWORD src1_sel:WORD_1
	v_and_b32_e32 v12, 0xffff, v10
; %bb.37:
	s_or_b64 exec, exec, s[4:5]
	s_nop 0
	v_mov_b32_dpp v14, v12 row_shr:4 row_mask:0xf bank_mask:0xf
	v_cmp_lt_u32_e32 vcc, 3, v13
	s_and_saveexec_b64 s[4:5], vcc
; %bb.38:
	v_lshlrev_b32_e32 v10, 16, v12
	v_lshlrev_b32_e32 v12, 16, v14
	v_add_f32_e32 v10, v12, v10
	v_bfe_u32 v12, v10, 16, 1
	v_add3_u32 v12, v10, v12, s3
	v_cmp_o_f32_e32 vcc, v10, v10
	v_mov_b32_e32 v10, 0x7fc0
	;; [unrolled: 17-line block ×3, first 2 shown]
	s_nop 0
	v_cndmask_b32_sdwa v10, v10, v12, vcc dst_sel:DWORD dst_unused:UNUSED_PAD src0_sel:DWORD src1_sel:WORD_1
	v_and_b32_e32 v12, 0xffff, v10
; %bb.41:
	s_or_b64 exec, exec, s[4:5]
	v_and_b32_e32 v14, 16, v11
	v_mov_b32_dpp v13, v12 row_bcast:15 row_mask:0xf bank_mask:0xf
	v_cmp_ne_u32_e32 vcc, 0, v14
	s_and_saveexec_b64 s[4:5], vcc
; %bb.42:
	v_lshlrev_b32_e32 v10, 16, v12
	v_lshlrev_b32_e32 v12, 16, v13
	v_add_f32_e32 v10, v12, v10
	v_bfe_u32 v12, v10, 16, 1
	v_add3_u32 v12, v10, v12, s3
	v_cmp_o_f32_e32 vcc, v10, v10
	v_mov_b32_e32 v10, 0x7fc0
	s_nop 0
	v_cndmask_b32_sdwa v10, v10, v12, vcc dst_sel:DWORD dst_unused:UNUSED_PAD src0_sel:DWORD src1_sel:WORD_1
	v_and_b32_e32 v12, 0xffff, v10
; %bb.43:
	s_or_b64 exec, exec, s[4:5]
	s_nop 0
	v_mov_b32_dpp v13, v12 row_bcast:31 row_mask:0xf bank_mask:0xf
	v_cmp_lt_u32_e32 vcc, 31, v11
	s_and_saveexec_b64 s[4:5], vcc
; %bb.44:
	v_lshlrev_b32_e32 v10, 16, v12
	v_lshlrev_b32_e32 v12, 16, v13
	v_add_f32_e32 v10, v12, v10
	v_bfe_u32 v12, v10, 16, 1
	v_add3_u32 v12, v10, v12, s3
	v_cmp_o_f32_e32 vcc, v10, v10
	v_mov_b32_e32 v10, 0x7fc0
	s_nop 0
	v_cndmask_b32_sdwa v10, v10, v12, vcc dst_sel:DWORD dst_unused:UNUSED_PAD src0_sel:DWORD src1_sel:WORD_1
; %bb.45:
	s_or_b64 exec, exec, s[4:5]
	v_or_b32_e32 v13, 63, v0
	v_lshrrev_b32_e32 v12, 6, v0
	v_cmp_eq_u32_e32 vcc, v0, v13
	s_and_saveexec_b64 s[4:5], vcc
; %bb.46:
	v_lshlrev_b32_e32 v13, 1, v12
	ds_write_b16 v13, v10
; %bb.47:
	s_or_b64 exec, exec, s[4:5]
	v_cmp_gt_u32_e32 vcc, 2, v0
	s_waitcnt lgkmcnt(0)
	s_barrier
	s_and_saveexec_b64 s[4:5], vcc
	s_cbranch_execz .LBB115_51
; %bb.48:
	ds_read_u16 v13, v2
	v_and_b32_e32 v31, 1, v11
	v_cmp_eq_u32_e32 vcc, 1, v31
	s_waitcnt lgkmcnt(0)
	v_and_b32_e32 v14, 0xffff, v13
	s_nop 1
	v_mov_b32_dpp v15, v14 row_shr:1 row_mask:0xf bank_mask:0xf
	s_and_saveexec_b64 s[6:7], vcc
; %bb.49:
	v_lshlrev_b32_e32 v13, 16, v14
	v_lshlrev_b32_e32 v14, 16, v15
	v_add_f32_e32 v13, v14, v13
	v_bfe_u32 v14, v13, 16, 1
	v_add3_u32 v14, v13, v14, s3
	v_cmp_o_f32_e32 vcc, v13, v13
	v_mov_b32_e32 v13, 0x7fc0
	s_nop 0
	v_cndmask_b32_sdwa v13, v13, v14, vcc dst_sel:DWORD dst_unused:UNUSED_PAD src0_sel:DWORD src1_sel:WORD_1
; %bb.50:
	s_or_b64 exec, exec, s[6:7]
	ds_write_b16 v2, v13
.LBB115_51:
	s_or_b64 exec, exec, s[4:5]
	v_cmp_gt_u32_e64 s[4:5], 64, v0
	v_cmp_lt_u32_e32 vcc, 63, v0
	s_waitcnt lgkmcnt(0)
	s_barrier
                                        ; implicit-def: $vgpr31
	s_and_saveexec_b64 s[6:7], vcc
	s_cbranch_execz .LBB115_53
; %bb.52:
	v_lshl_add_u32 v12, v12, 1, -2
	ds_read_u16 v31, v12
	v_lshlrev_b32_e32 v10, 16, v10
	v_mov_b32_e32 v12, 0x7fc0
	s_waitcnt lgkmcnt(0)
	v_lshlrev_b32_e32 v13, 16, v31
	v_add_f32_e32 v10, v13, v10
	v_bfe_u32 v13, v10, 16, 1
	v_cmp_o_f32_e32 vcc, v10, v10
	v_add3_u32 v10, v10, v13, s3
	s_nop 0
	v_cndmask_b32_sdwa v10, v12, v10, vcc dst_sel:DWORD dst_unused:UNUSED_PAD src0_sel:DWORD src1_sel:WORD_1
.LBB115_53:
	s_or_b64 exec, exec, s[6:7]
	v_subrev_co_u32_e64 v12, s[6:7], 1, v11
	v_and_b32_e32 v13, 64, v11
	v_cmp_lt_i32_e32 vcc, v12, v13
	v_and_b32_e32 v10, 0xffff, v10
	s_nop 0
	v_cndmask_b32_e32 v12, v12, v11, vcc
	v_lshlrev_b32_e32 v12, 2, v12
	ds_bpermute_b32 v32, v12, v10
	s_and_saveexec_b64 s[12:13], s[4:5]
	s_cbranch_execz .LBB115_97
; %bb.54:
	v_mov_b32_e32 v13, 0
	ds_read_u16 v33, v13 offset:2
	s_and_saveexec_b64 s[4:5], s[6:7]
	s_cbranch_execz .LBB115_56
; %bb.55:
	s_add_i32 s14, s2, 64
	s_mov_b32 s15, 0
	s_lshl_b64 s[14:15], s[14:15], 2
	s_add_u32 s14, s8, s14
	s_waitcnt lgkmcnt(0)
	v_or_b32_e32 v10, 0x10000, v33
	s_addc_u32 s15, s9, s15
	global_store_dword v13, v10, s[14:15] sc1
.LBB115_56:
	s_or_b64 exec, exec, s[4:5]
	v_xad_u32 v10, v11, -1, s2
	v_add_u32_e32 v12, 64, v10
	v_lshl_add_u64 v[14:15], v[12:13], 2, s[8:9]
	global_load_dword v50, v[14:15], off sc1
	s_waitcnt vmcnt(0)
	v_lshrrev_b32_e32 v34, 16, v50
	v_cmp_eq_u16_sdwa s[14:15], v34, v13 src0_sel:BYTE_0 src1_sel:DWORD
	s_and_saveexec_b64 s[4:5], s[14:15]
	s_cbranch_execz .LBB115_60
; %bb.57:
	s_mov_b64 s[14:15], 0
	v_mov_b32_e32 v12, 0
.LBB115_58:                             ; =>This Inner Loop Header: Depth=1
	global_load_dword v50, v[14:15], off sc1
	s_waitcnt vmcnt(0)
	v_lshrrev_b32_e32 v34, 16, v50
	v_cmp_ne_u16_sdwa s[22:23], v34, v12 src0_sel:BYTE_0 src1_sel:DWORD
	s_or_b64 s[14:15], s[22:23], s[14:15]
	s_andn2_b64 exec, exec, s[14:15]
	s_cbranch_execnz .LBB115_58
; %bb.59:
	s_or_b64 exec, exec, s[14:15]
.LBB115_60:
	s_or_b64 exec, exec, s[4:5]
	v_and_b32_e32 v15, 63, v11
	v_mov_b32_e32 v12, 2
	v_cmp_ne_u32_e32 vcc, 63, v15
	v_cmp_eq_u16_sdwa s[4:5], v34, v12 src0_sel:BYTE_0 src1_sel:DWORD
	v_lshlrev_b64 v[12:13], v11, -1
	v_addc_co_u32_e32 v35, vcc, 0, v11, vcc
	v_and_b32_e32 v14, s5, v13
	v_lshlrev_b32_e32 v35, 2, v35
	v_and_b32_e32 v45, 0xffff, v50
	v_or_b32_e32 v14, 0x80000000, v14
	ds_bpermute_b32 v37, v35, v45
	v_and_b32_e32 v36, s4, v12
	v_ffbl_b32_e32 v14, v14
	v_add_u32_e32 v14, 32, v14
	v_ffbl_b32_e32 v36, v36
	v_min_u32_e32 v14, v36, v14
	v_add_u32_e32 v36, 1, v11
	v_cmp_le_u32_e32 vcc, v36, v14
	s_and_saveexec_b64 s[4:5], vcc
	s_cbranch_execz .LBB115_62
; %bb.61:
	v_lshlrev_b32_e32 v38, 16, v45
	s_waitcnt lgkmcnt(0)
	v_lshlrev_b32_e32 v37, 16, v37
	v_add_f32_e32 v37, v37, v38
	v_bfe_u32 v38, v37, 16, 1
	s_movk_i32 s3, 0x7fff
	v_add3_u32 v38, v37, v38, s3
	v_cmp_o_f32_e32 vcc, v37, v37
	v_mov_b32_e32 v37, 0x7fc0
	s_nop 0
	v_cndmask_b32_sdwa v50, v37, v38, vcc dst_sel:DWORD dst_unused:UNUSED_PAD src0_sel:DWORD src1_sel:WORD_1
	v_and_b32_e32 v45, 0xffff, v50
.LBB115_62:
	s_or_b64 exec, exec, s[4:5]
	v_cmp_gt_u32_e32 vcc, 62, v15
	v_add_u32_e32 v38, 2, v11
	s_waitcnt lgkmcnt(0)
	v_cndmask_b32_e64 v37, 0, 2, vcc
	v_add_lshl_u32 v37, v37, v11, 2
	ds_bpermute_b32 v39, v37, v45
	v_cmp_le_u32_e32 vcc, v38, v14
	s_and_saveexec_b64 s[4:5], vcc
	s_cbranch_execz .LBB115_64
; %bb.63:
	v_lshlrev_b32_e32 v40, 16, v45
	s_waitcnt lgkmcnt(0)
	v_lshlrev_b32_e32 v39, 16, v39
	v_add_f32_e32 v39, v39, v40
	v_bfe_u32 v40, v39, 16, 1
	s_movk_i32 s3, 0x7fff
	v_add3_u32 v40, v39, v40, s3
	v_cmp_o_f32_e32 vcc, v39, v39
	v_mov_b32_e32 v39, 0x7fc0
	s_nop 0
	v_cndmask_b32_sdwa v50, v39, v40, vcc dst_sel:DWORD dst_unused:UNUSED_PAD src0_sel:DWORD src1_sel:WORD_1
	v_and_b32_e32 v45, 0xffff, v50
.LBB115_64:
	s_or_b64 exec, exec, s[4:5]
	v_cmp_gt_u32_e32 vcc, 60, v15
	v_add_u32_e32 v40, 4, v11
	s_waitcnt lgkmcnt(0)
	v_cndmask_b32_e64 v39, 0, 4, vcc
	v_add_lshl_u32 v39, v39, v11, 2
	ds_bpermute_b32 v41, v39, v45
	;; [unrolled: 24-line block ×3, first 2 shown]
	v_cmp_le_u32_e32 vcc, v42, v14
	s_and_saveexec_b64 s[4:5], vcc
	s_cbranch_execz .LBB115_68
; %bb.67:
	v_lshlrev_b32_e32 v44, 16, v45
	s_waitcnt lgkmcnt(0)
	v_lshlrev_b32_e32 v43, 16, v43
	v_add_f32_e32 v43, v43, v44
	v_bfe_u32 v44, v43, 16, 1
	s_movk_i32 s3, 0x7fff
	v_add3_u32 v44, v43, v44, s3
	v_cmp_o_f32_e32 vcc, v43, v43
	v_mov_b32_e32 v43, 0x7fc0
	s_nop 0
	v_cndmask_b32_sdwa v50, v43, v44, vcc dst_sel:DWORD dst_unused:UNUSED_PAD src0_sel:DWORD src1_sel:WORD_1
	v_and_b32_e32 v45, 0xffff, v50
.LBB115_68:
	s_or_b64 exec, exec, s[4:5]
	v_cmp_gt_u32_e32 vcc, 48, v15
	v_add_u32_e32 v44, 16, v11
	s_nop 0
	v_cndmask_b32_e64 v15, 0, 16, vcc
	s_waitcnt lgkmcnt(0)
	v_add_lshl_u32 v43, v15, v11, 2
	ds_bpermute_b32 v15, v43, v45
	v_cmp_le_u32_e32 vcc, v44, v14
	s_and_saveexec_b64 s[4:5], vcc
	s_cbranch_execz .LBB115_70
; %bb.69:
	v_lshlrev_b32_e32 v45, 16, v45
	s_waitcnt lgkmcnt(0)
	v_lshlrev_b32_e32 v15, 16, v15
	v_add_f32_e32 v15, v15, v45
	v_bfe_u32 v45, v15, 16, 1
	s_movk_i32 s3, 0x7fff
	v_add3_u32 v45, v15, v45, s3
	v_cmp_o_f32_e32 vcc, v15, v15
	v_mov_b32_e32 v15, 0x7fc0
	s_nop 0
	v_cndmask_b32_sdwa v50, v15, v45, vcc dst_sel:DWORD dst_unused:UNUSED_PAD src0_sel:DWORD src1_sel:WORD_1
	v_and_b32_e32 v45, 0xffff, v50
.LBB115_70:
	s_or_b64 exec, exec, s[4:5]
	s_waitcnt lgkmcnt(0)
	v_mov_b32_e32 v15, 0x80
	v_lshl_or_b32 v46, v11, 2, v15
	ds_bpermute_b32 v15, v46, v45
	v_add_u32_e32 v47, 32, v11
	v_cmp_le_u32_e32 vcc, v47, v14
	s_and_saveexec_b64 s[4:5], vcc
	s_cbranch_execz .LBB115_72
; %bb.71:
	v_lshlrev_b32_e32 v11, 16, v45
	s_waitcnt lgkmcnt(0)
	v_lshlrev_b32_e32 v14, 16, v15
	v_add_f32_e32 v11, v14, v11
	v_bfe_u32 v14, v11, 16, 1
	s_movk_i32 s3, 0x7fff
	v_add3_u32 v14, v11, v14, s3
	v_cmp_o_f32_e32 vcc, v11, v11
	v_mov_b32_e32 v11, 0x7fc0
	s_nop 0
	v_cndmask_b32_sdwa v50, v11, v14, vcc dst_sel:DWORD dst_unused:UNUSED_PAD src0_sel:DWORD src1_sel:WORD_1
.LBB115_72:
	s_or_b64 exec, exec, s[4:5]
	v_mov_b32_e32 v11, 0
	s_movk_i32 s3, 0x7fff
	v_mov_b32_e32 v48, 2
	v_mov_b32_e32 v49, 0x7fc0
	s_branch .LBB115_75
.LBB115_73:                             ;   in Loop: Header=BB115_75 Depth=1
	s_or_b64 exec, exec, s[4:5]
	v_lshlrev_b32_e32 v14, 16, v45
	v_lshlrev_b32_e32 v15, 16, v50
	v_add_f32_e32 v14, v15, v14
	v_bfe_u32 v15, v14, 16, 1
	v_add3_u32 v15, v14, v15, s3
	v_cmp_o_f32_e32 vcc, v14, v14
	v_subrev_u32_e32 v10, 64, v10
	s_mov_b64 s[4:5], 0
	v_cndmask_b32_sdwa v50, v49, v15, vcc dst_sel:DWORD dst_unused:UNUSED_PAD src0_sel:DWORD src1_sel:WORD_1
.LBB115_74:                             ;   in Loop: Header=BB115_75 Depth=1
	s_and_b64 vcc, exec, s[4:5]
	s_cbranch_vccnz .LBB115_93
.LBB115_75:                             ; =>This Loop Header: Depth=1
                                        ;     Child Loop BB115_78 Depth 2
	v_cmp_ne_u16_sdwa s[4:5], v34, v48 src0_sel:BYTE_0 src1_sel:DWORD
	v_mov_b32_e32 v45, v50
	s_cmp_lg_u64 s[4:5], exec
	s_mov_b64 s[4:5], -1
                                        ; implicit-def: $vgpr50
                                        ; implicit-def: $vgpr34
	s_cbranch_scc1 .LBB115_74
; %bb.76:                               ;   in Loop: Header=BB115_75 Depth=1
	s_waitcnt lgkmcnt(0)
	v_lshl_add_u64 v[14:15], v[10:11], 2, s[8:9]
	global_load_dword v50, v[14:15], off sc1
	s_waitcnt vmcnt(0)
	v_lshrrev_b32_e32 v34, 16, v50
	v_cmp_eq_u16_sdwa s[14:15], v34, v11 src0_sel:BYTE_0 src1_sel:DWORD
	s_and_saveexec_b64 s[4:5], s[14:15]
	s_cbranch_execz .LBB115_80
; %bb.77:                               ;   in Loop: Header=BB115_75 Depth=1
	s_mov_b64 s[14:15], 0
.LBB115_78:                             ;   Parent Loop BB115_75 Depth=1
                                        ; =>  This Inner Loop Header: Depth=2
	global_load_dword v50, v[14:15], off sc1
	s_waitcnt vmcnt(0)
	v_lshrrev_b32_e32 v34, 16, v50
	v_cmp_ne_u16_sdwa s[22:23], v34, v11 src0_sel:BYTE_0 src1_sel:DWORD
	s_or_b64 s[14:15], s[22:23], s[14:15]
	s_andn2_b64 exec, exec, s[14:15]
	s_cbranch_execnz .LBB115_78
; %bb.79:                               ;   in Loop: Header=BB115_75 Depth=1
	s_or_b64 exec, exec, s[14:15]
.LBB115_80:                             ;   in Loop: Header=BB115_75 Depth=1
	s_or_b64 exec, exec, s[4:5]
	v_cmp_eq_u16_sdwa s[4:5], v34, v48 src0_sel:BYTE_0 src1_sel:DWORD
	v_and_b32_e32 v15, 0xffff, v50
	ds_bpermute_b32 v51, v35, v15
	v_and_b32_e32 v14, s5, v13
	v_or_b32_e32 v14, 0x80000000, v14
	v_and_b32_e32 v52, s4, v12
	v_ffbl_b32_e32 v14, v14
	v_add_u32_e32 v14, 32, v14
	v_ffbl_b32_e32 v52, v52
	v_min_u32_e32 v14, v52, v14
	v_cmp_le_u32_e32 vcc, v36, v14
	s_and_saveexec_b64 s[4:5], vcc
	s_cbranch_execz .LBB115_82
; %bb.81:                               ;   in Loop: Header=BB115_75 Depth=1
	v_lshlrev_b32_e32 v15, 16, v15
	s_waitcnt lgkmcnt(0)
	v_lshlrev_b32_e32 v50, 16, v51
	v_add_f32_e32 v15, v50, v15
	v_bfe_u32 v50, v15, 16, 1
	v_add3_u32 v50, v15, v50, s3
	v_cmp_o_f32_e32 vcc, v15, v15
	s_nop 1
	v_cndmask_b32_sdwa v50, v49, v50, vcc dst_sel:DWORD dst_unused:UNUSED_PAD src0_sel:DWORD src1_sel:WORD_1
	v_and_b32_e32 v15, 0xffff, v50
.LBB115_82:                             ;   in Loop: Header=BB115_75 Depth=1
	s_or_b64 exec, exec, s[4:5]
	s_waitcnt lgkmcnt(0)
	ds_bpermute_b32 v51, v37, v15
	v_cmp_le_u32_e32 vcc, v38, v14
	s_and_saveexec_b64 s[4:5], vcc
	s_cbranch_execz .LBB115_84
; %bb.83:                               ;   in Loop: Header=BB115_75 Depth=1
	v_lshlrev_b32_e32 v15, 16, v15
	s_waitcnt lgkmcnt(0)
	v_lshlrev_b32_e32 v50, 16, v51
	v_add_f32_e32 v15, v50, v15
	v_bfe_u32 v50, v15, 16, 1
	v_add3_u32 v50, v15, v50, s3
	v_cmp_o_f32_e32 vcc, v15, v15
	s_nop 1
	v_cndmask_b32_sdwa v50, v49, v50, vcc dst_sel:DWORD dst_unused:UNUSED_PAD src0_sel:DWORD src1_sel:WORD_1
	v_and_b32_e32 v15, 0xffff, v50
.LBB115_84:                             ;   in Loop: Header=BB115_75 Depth=1
	s_or_b64 exec, exec, s[4:5]
	s_waitcnt lgkmcnt(0)
	ds_bpermute_b32 v51, v39, v15
	;; [unrolled: 18-line block ×5, first 2 shown]
	v_cmp_le_u32_e32 vcc, v47, v14
	s_and_saveexec_b64 s[4:5], vcc
	s_cbranch_execz .LBB115_73
; %bb.91:                               ;   in Loop: Header=BB115_75 Depth=1
	v_lshlrev_b32_e32 v14, 16, v15
	s_waitcnt lgkmcnt(0)
	v_lshlrev_b32_e32 v15, 16, v51
	v_add_f32_e32 v14, v15, v14
	v_bfe_u32 v15, v14, 16, 1
	v_add3_u32 v15, v14, v15, s3
	v_cmp_o_f32_e32 vcc, v14, v14
	s_nop 1
	v_cndmask_b32_sdwa v50, v49, v15, vcc dst_sel:DWORD dst_unused:UNUSED_PAD src0_sel:DWORD src1_sel:WORD_1
	s_branch .LBB115_73
.LBB115_92:
                                        ; implicit-def: $vgpr10
                                        ; implicit-def: $vgpr30
                                        ; implicit-def: $vgpr17
                                        ; implicit-def: $vgpr18
                                        ; implicit-def: $vgpr19
                                        ; implicit-def: $vgpr20
                                        ; implicit-def: $vgpr11
                                        ; implicit-def: $vgpr21
                                        ; implicit-def: $vgpr12
                                        ; implicit-def: $vgpr22
                                        ; implicit-def: $vgpr13
                                        ; implicit-def: $vgpr23
                                        ; implicit-def: $vgpr14
                                        ; implicit-def: $vgpr15
	s_load_dwordx4 s[12:15], s[0:1], 0x30
	s_cbranch_execnz .LBB115_100
	s_branch .LBB115_127
.LBB115_93:
	s_and_saveexec_b64 s[4:5], s[6:7]
	s_cbranch_execz .LBB115_95
; %bb.94:
	v_lshlrev_b32_e32 v10, 16, v33
	v_lshlrev_b32_e32 v11, 16, v45
	v_add_f32_e32 v10, v11, v10
	v_bfe_u32 v11, v10, 16, 1
	s_movk_i32 s3, 0x7fff
	v_add3_u32 v11, v10, v11, s3
	s_add_i32 s2, s2, 64
	s_mov_b32 s3, 0
	s_lshl_b64 s[2:3], s[2:3], 2
	s_mov_b32 s14, 0x20000
	s_add_u32 s2, s8, s2
	v_or_b32_sdwa v11, v11, s14 dst_sel:DWORD dst_unused:UNUSED_PAD src0_sel:WORD_1 src1_sel:DWORD
	v_mov_b32_e32 v13, 0x27fc0
	v_cmp_o_f32_e32 vcc, v10, v10
	s_addc_u32 s3, s9, s3
	v_mov_b32_e32 v12, 0
	v_cndmask_b32_e32 v10, v13, v11, vcc
	global_store_dword v12, v10, s[2:3] sc1
.LBB115_95:
	s_or_b64 exec, exec, s[4:5]
	v_cmp_eq_u32_e32 vcc, 0, v0
	s_and_b64 exec, exec, vcc
; %bb.96:
	v_mov_b32_e32 v10, 0
	ds_write_b16 v10, v45 offset:2
.LBB115_97:
	s_or_b64 exec, exec, s[12:13]
	v_mov_b32_e32 v10, 0
	s_waitcnt lgkmcnt(0)
	s_barrier
	ds_read_u16 v10, v10 offset:2
	v_cmp_ne_u32_e32 vcc, 0, v0
	s_and_saveexec_b64 s[2:3], vcc
	s_cbranch_execz .LBB115_99
; %bb.98:
	s_mov_b64 vcc, s[6:7]
	v_cndmask_b32_sdwa v11, v32, v31, vcc dst_sel:WORD_1 dst_unused:UNUSED_PAD src0_sel:DWORD src1_sel:DWORD
	s_movk_i32 s4, 0x7fff
	v_add_f32_e32 v11, v30, v11
	v_bfe_u32 v12, v11, 16, 1
	v_add3_u32 v12, v11, v12, s4
	v_and_b32_e32 v12, 0xffff0000, v12
	v_mov_b32_e32 v13, 0x7fc00000
	v_cmp_o_f32_e32 vcc, v11, v11
	s_nop 1
	v_cndmask_b32_e32 v30, v13, v12, vcc
.LBB115_99:
	s_or_b64 exec, exec, s[2:3]
	s_waitcnt lgkmcnt(0)
	v_lshlrev_b32_e32 v10, 16, v10
	v_add_f32_e32 v10, v30, v10
	v_bfe_u32 v11, v10, 16, 1
	s_movk_i32 s2, 0x7fff
	v_add3_u32 v11, v10, v11, s2
	v_cmp_o_f32_e32 vcc, v10, v10
	v_mov_b32_e32 v15, 0x7fc0
	s_nop 0
	v_cndmask_b32_sdwa v10, v15, v11, vcc dst_sel:DWORD dst_unused:UNUSED_PAD src0_sel:DWORD src1_sel:WORD_1
	v_lshlrev_b32_e32 v11, 16, v10
	v_add_f32_e32 v11, v17, v11
	v_bfe_u32 v12, v11, 16, 1
	v_add3_u32 v12, v11, v12, s2
	v_cmp_o_f32_e32 vcc, v11, v11
	s_nop 1
	v_cndmask_b32_sdwa v30, v15, v12, vcc dst_sel:DWORD dst_unused:UNUSED_PAD src0_sel:DWORD src1_sel:WORD_1
	v_lshlrev_b32_e32 v11, 16, v30
	v_add_f32_e32 v11, v18, v11
	v_bfe_u32 v12, v11, 16, 1
	v_add3_u32 v12, v11, v12, s2
	v_cmp_o_f32_e32 vcc, v11, v11
	;; [unrolled: 7-line block ×13, first 2 shown]
	s_nop 1
	v_cndmask_b32_sdwa v15, v15, v25, vcc dst_sel:DWORD dst_unused:UNUSED_PAD src0_sel:DWORD src1_sel:WORD_1
	s_load_dwordx4 s[12:15], s[0:1], 0x30
	s_branch .LBB115_127
.LBB115_100:
	s_load_dword s6, s[0:1], 0x40
	v_cmp_eq_u32_e64 s[2:3], 0, v0
	v_cmp_ne_u32_e64 s[4:5], 0, v0
	v_mov_b32_e32 v10, v8
	s_waitcnt lgkmcnt(0)
	s_bitcmp1_b32 s6, 0
	s_cselect_b64 s[6:7], -1, 0
	s_and_b64 s[22:23], s[2:3], s[6:7]
	s_and_saveexec_b64 s[6:7], s[22:23]
	s_cbranch_execz .LBB115_102
; %bb.101:
	v_mov_b32_e32 v10, 0
	global_load_ushort v10, v10, s[12:13]
	v_lshlrev_b32_e32 v11, 16, v8
	s_movk_i32 s12, 0x7fff
	v_mov_b32_e32 v12, 0x7fc0
	s_waitcnt vmcnt(0)
	v_lshlrev_b32_e32 v10, 16, v10
	v_add_f32_e32 v10, v10, v11
	v_bfe_u32 v11, v10, 16, 1
	v_cmp_o_f32_e32 vcc, v10, v10
	v_add3_u32 v10, v10, v11, s12
	s_nop 0
	v_cndmask_b32_sdwa v10, v12, v10, vcc dst_sel:DWORD dst_unused:UNUSED_PAD src0_sel:DWORD src1_sel:WORD_1
.LBB115_102:
	s_or_b64 exec, exec, s[6:7]
	v_and_b32_e32 v18, 0xffff0000, v8
	v_lshlrev_b32_e32 v21, 16, v10
	v_add_f32_e32 v19, v21, v18
	v_bfe_u32 v8, v19, 16, 1
	s_movk_i32 s12, 0x7fff
	v_add3_u32 v20, v19, v8, s12
	v_and_b32_e32 v8, 0xffff0000, v20
	v_mov_b32_e32 v15, 0x7fc00000
	v_cmp_o_f32_e32 vcc, v19, v19
	v_mov_b32_e32 v22, 16
	v_lshlrev_b32_sdwa v17, v22, v9 dst_sel:DWORD dst_unused:UNUSED_PAD src0_sel:DWORD src1_sel:WORD_0
	v_cndmask_b32_e32 v8, v15, v8, vcc
	v_add_f32_e32 v8, v8, v17
	v_bfe_u32 v11, v8, 16, 1
	v_add3_u32 v11, v8, v11, s12
	v_and_b32_e32 v11, 0xffff0000, v11
	v_cmp_o_f32_e32 vcc, v8, v8
	v_lshlrev_b32_sdwa v8, v22, v9 dst_sel:DWORD dst_unused:UNUSED_PAD src0_sel:DWORD src1_sel:WORD_1
	v_mbcnt_hi_u32_b32 v3, -1, v3
	v_cndmask_b32_e32 v11, v15, v11, vcc
	v_add_f32_e32 v9, v11, v8
	v_bfe_u32 v11, v9, 16, 1
	v_add3_u32 v11, v9, v11, s12
	v_and_b32_e32 v11, 0xffff0000, v11
	v_cmp_o_f32_e32 vcc, v9, v9
	v_lshlrev_b32_sdwa v9, v22, v6 dst_sel:DWORD dst_unused:UNUSED_PAD src0_sel:DWORD src1_sel:WORD_0
	v_lshlrev_b32_sdwa v6, v22, v6 dst_sel:DWORD dst_unused:UNUSED_PAD src0_sel:DWORD src1_sel:WORD_1
	v_cndmask_b32_e32 v11, v15, v11, vcc
	v_add_f32_e32 v11, v11, v9
	v_bfe_u32 v12, v11, 16, 1
	v_add3_u32 v12, v11, v12, s12
	v_and_b32_e32 v12, 0xffff0000, v12
	v_cmp_o_f32_e32 vcc, v11, v11
	s_nop 1
	v_cndmask_b32_e32 v11, v15, v12, vcc
	v_add_f32_e32 v11, v11, v6
	v_bfe_u32 v12, v11, 16, 1
	v_add3_u32 v12, v11, v12, s12
	v_and_b32_e32 v12, 0xffff0000, v12
	v_cmp_o_f32_e32 vcc, v11, v11
	v_lshlrev_b32_sdwa v11, v22, v7 dst_sel:DWORD dst_unused:UNUSED_PAD src0_sel:DWORD src1_sel:WORD_0
	v_lshlrev_b32_sdwa v7, v22, v7 dst_sel:DWORD dst_unused:UNUSED_PAD src0_sel:DWORD src1_sel:WORD_1
	v_cndmask_b32_e32 v12, v15, v12, vcc
	v_add_f32_e32 v12, v12, v11
	v_bfe_u32 v13, v12, 16, 1
	v_add3_u32 v13, v12, v13, s12
	v_and_b32_e32 v13, 0xffff0000, v13
	v_cmp_o_f32_e32 vcc, v12, v12
	s_nop 1
	;; [unrolled: 15-line block ×4, first 2 shown]
	v_cndmask_b32_e32 v14, v15, v23, vcc
	v_add_f32_e32 v14, v14, v5
	v_bfe_u32 v23, v14, 16, 1
	v_add3_u32 v23, v14, v23, s12
	v_and_b32_e32 v23, 0xffff0000, v23
	v_cmp_o_f32_e32 vcc, v14, v14
	v_lshlrev_b32_sdwa v14, v22, v16 dst_sel:DWORD dst_unused:UNUSED_PAD src0_sel:DWORD src1_sel:WORD_0
	s_nop 0
	v_cndmask_b32_e32 v23, v15, v23, vcc
	v_add_f32_e32 v23, v23, v14
	v_bfe_u32 v24, v23, 16, 1
	v_add3_u32 v24, v23, v24, s12
	v_and_b32_e32 v24, 0xffff0000, v24
	v_cmp_o_f32_e32 vcc, v23, v23
	s_nop 1
	v_cndmask_b32_e32 v23, v15, v24, vcc
	v_lshlrev_b32_sdwa v15, v22, v16 dst_sel:DWORD dst_unused:UNUSED_PAD src0_sel:DWORD src1_sel:WORD_1
	v_add_f32_e32 v16, v23, v15
	v_bfe_u32 v22, v16, 16, 1
	v_add3_u32 v22, v16, v22, s12
	v_lshrrev_b32_e32 v22, 16, v22
	v_mov_b32_e32 v24, 0x7fc0
	v_cmp_o_f32_e32 vcc, v16, v16
	v_and_b32_e32 v23, 15, v3
	s_nop 0
	v_cndmask_b32_e32 v16, v24, v22, vcc
	v_and_b32_e32 v22, 0xffff, v16
	v_cmp_ne_u32_e32 vcc, 0, v23
	s_nop 0
	v_mov_b32_dpp v25, v22 row_shr:1 row_mask:0xf bank_mask:0xf
	s_and_saveexec_b64 s[6:7], vcc
; %bb.103:
	v_lshlrev_b32_e32 v16, 16, v25
	v_lshlrev_b32_e32 v22, 16, v22
	v_add_f32_e32 v16, v22, v16
	v_bfe_u32 v22, v16, 16, 1
	v_add3_u32 v22, v16, v22, s12
	v_cmp_o_f32_e32 vcc, v16, v16
	s_nop 1
	v_cndmask_b32_sdwa v16, v24, v22, vcc dst_sel:DWORD dst_unused:UNUSED_PAD src0_sel:DWORD src1_sel:WORD_1
	v_and_b32_e32 v22, 0xffff, v16
; %bb.104:
	s_or_b64 exec, exec, s[6:7]
	s_nop 0
	v_mov_b32_dpp v24, v22 row_shr:2 row_mask:0xf bank_mask:0xf
	v_cmp_lt_u32_e32 vcc, 1, v23
	s_and_saveexec_b64 s[6:7], vcc
; %bb.105:
	v_lshlrev_b32_e32 v16, 16, v22
	v_lshlrev_b32_e32 v22, 16, v24
	v_add_f32_e32 v16, v22, v16
	v_bfe_u32 v22, v16, 16, 1
	v_add3_u32 v22, v16, v22, s12
	v_cmp_o_f32_e32 vcc, v16, v16
	v_mov_b32_e32 v16, 0x7fc0
	s_nop 0
	v_cndmask_b32_sdwa v16, v16, v22, vcc dst_sel:DWORD dst_unused:UNUSED_PAD src0_sel:DWORD src1_sel:WORD_1
	v_and_b32_e32 v22, 0xffff, v16
; %bb.106:
	s_or_b64 exec, exec, s[6:7]
	s_nop 0
	v_mov_b32_dpp v24, v22 row_shr:4 row_mask:0xf bank_mask:0xf
	v_cmp_lt_u32_e32 vcc, 3, v23
	s_and_saveexec_b64 s[6:7], vcc
; %bb.107:
	v_lshlrev_b32_e32 v16, 16, v22
	v_lshlrev_b32_e32 v22, 16, v24
	v_add_f32_e32 v16, v22, v16
	v_bfe_u32 v22, v16, 16, 1
	v_add3_u32 v22, v16, v22, s12
	v_cmp_o_f32_e32 vcc, v16, v16
	v_mov_b32_e32 v16, 0x7fc0
	;; [unrolled: 17-line block ×3, first 2 shown]
	s_nop 0
	v_cndmask_b32_sdwa v16, v16, v22, vcc dst_sel:DWORD dst_unused:UNUSED_PAD src0_sel:DWORD src1_sel:WORD_1
	v_and_b32_e32 v22, 0xffff, v16
; %bb.110:
	s_or_b64 exec, exec, s[6:7]
	v_and_b32_e32 v24, 16, v3
	v_mov_b32_dpp v23, v22 row_bcast:15 row_mask:0xf bank_mask:0xf
	v_cmp_ne_u32_e32 vcc, 0, v24
	s_and_saveexec_b64 s[6:7], vcc
; %bb.111:
	v_lshlrev_b32_e32 v16, 16, v22
	v_lshlrev_b32_e32 v22, 16, v23
	v_add_f32_e32 v16, v22, v16
	v_bfe_u32 v22, v16, 16, 1
	v_add3_u32 v22, v16, v22, s12
	v_cmp_o_f32_e32 vcc, v16, v16
	v_mov_b32_e32 v16, 0x7fc0
	s_nop 0
	v_cndmask_b32_sdwa v16, v16, v22, vcc dst_sel:DWORD dst_unused:UNUSED_PAD src0_sel:DWORD src1_sel:WORD_1
	v_and_b32_e32 v22, 0xffff, v16
; %bb.112:
	s_or_b64 exec, exec, s[6:7]
	s_nop 0
	v_mov_b32_dpp v23, v22 row_bcast:31 row_mask:0xf bank_mask:0xf
	v_cmp_lt_u32_e32 vcc, 31, v3
	s_and_saveexec_b64 s[6:7], vcc
; %bb.113:
	v_lshlrev_b32_e32 v16, 16, v22
	v_lshlrev_b32_e32 v22, 16, v23
	v_add_f32_e32 v16, v22, v16
	v_bfe_u32 v22, v16, 16, 1
	v_add3_u32 v22, v16, v22, s12
	v_cmp_o_f32_e32 vcc, v16, v16
	v_mov_b32_e32 v16, 0x7fc0
	s_nop 0
	v_cndmask_b32_sdwa v16, v16, v22, vcc dst_sel:DWORD dst_unused:UNUSED_PAD src0_sel:DWORD src1_sel:WORD_1
; %bb.114:
	s_or_b64 exec, exec, s[6:7]
	v_or_b32_e32 v23, 63, v0
	v_lshrrev_b32_e32 v22, 6, v0
	v_cmp_eq_u32_e32 vcc, v0, v23
	s_and_saveexec_b64 s[6:7], vcc
; %bb.115:
	v_lshlrev_b32_e32 v23, 1, v22
	ds_write_b16 v23, v16
; %bb.116:
	s_or_b64 exec, exec, s[6:7]
	v_cmp_gt_u32_e32 vcc, 2, v0
	s_waitcnt lgkmcnt(0)
	s_barrier
	s_and_saveexec_b64 s[6:7], vcc
	s_cbranch_execz .LBB115_120
; %bb.117:
	ds_read_u16 v23, v2
	v_and_b32_e32 v26, 1, v3
	v_cmp_eq_u32_e32 vcc, 1, v26
	s_waitcnt lgkmcnt(0)
	v_and_b32_e32 v24, 0xffff, v23
	s_nop 1
	v_mov_b32_dpp v25, v24 row_shr:1 row_mask:0xf bank_mask:0xf
	s_and_saveexec_b64 s[12:13], vcc
; %bb.118:
	v_lshlrev_b32_e32 v23, 16, v24
	v_lshlrev_b32_e32 v24, 16, v25
	v_add_f32_e32 v23, v24, v23
	v_bfe_u32 v24, v23, 16, 1
	s_movk_i32 s22, 0x7fff
	v_add3_u32 v24, v23, v24, s22
	v_cmp_o_f32_e32 vcc, v23, v23
	v_mov_b32_e32 v23, 0x7fc0
	s_nop 0
	v_cndmask_b32_sdwa v23, v23, v24, vcc dst_sel:DWORD dst_unused:UNUSED_PAD src0_sel:DWORD src1_sel:WORD_1
; %bb.119:
	s_or_b64 exec, exec, s[12:13]
	ds_write_b16 v2, v23
.LBB115_120:
	s_or_b64 exec, exec, s[6:7]
	v_cmp_lt_u32_e32 vcc, 63, v0
	s_waitcnt lgkmcnt(0)
	s_barrier
                                        ; implicit-def: $vgpr23
	s_and_saveexec_b64 s[6:7], vcc
	s_cbranch_execz .LBB115_122
; %bb.121:
	v_lshl_add_u32 v22, v22, 1, -2
	ds_read_u16 v23, v22
	v_lshlrev_b32_e32 v16, 16, v16
	s_movk_i32 s12, 0x7fff
	v_mov_b32_e32 v22, 0x7fc0
	s_waitcnt lgkmcnt(0)
	v_lshlrev_b32_e32 v24, 16, v23
	v_add_f32_e32 v16, v24, v16
	v_bfe_u32 v24, v16, 16, 1
	v_cmp_o_f32_e32 vcc, v16, v16
	v_add3_u32 v16, v16, v24, s12
	s_nop 0
	v_cndmask_b32_sdwa v16, v22, v16, vcc dst_sel:DWORD dst_unused:UNUSED_PAD src0_sel:DWORD src1_sel:WORD_1
.LBB115_122:
	s_or_b64 exec, exec, s[6:7]
	v_add_u32_e32 v22, -1, v3
	v_and_b32_e32 v24, 64, v3
	v_cmp_lt_i32_e32 vcc, v22, v24
	v_and_b32_e32 v16, 0xffff, v16
	s_nop 0
	v_cndmask_b32_e32 v22, v22, v3, vcc
	v_lshlrev_b32_e32 v22, 2, v22
	ds_bpermute_b32 v16, v22, v16
	s_and_saveexec_b64 s[6:7], s[4:5]
	s_cbranch_execz .LBB115_124
; %bb.123:
	v_cmp_eq_u32_e32 vcc, 0, v3
	s_movk_i32 s4, 0x7fff
	s_waitcnt lgkmcnt(0)
	v_cndmask_b32_sdwa v3, v16, v23, vcc dst_sel:WORD_1 dst_unused:UNUSED_PAD src0_sel:DWORD src1_sel:DWORD
	s_nop 0
	v_add_f32_e32 v3, v21, v3
	v_bfe_u32 v10, v3, 16, 1
	v_add3_u32 v10, v3, v10, s4
	v_cmp_o_f32_e32 vcc, v3, v3
	v_mov_b32_e32 v3, 0x7fc0
	s_nop 0
	v_cndmask_b32_sdwa v10, v3, v10, vcc dst_sel:DWORD dst_unused:UNUSED_PAD src0_sel:DWORD src1_sel:WORD_1
	v_lshlrev_b32_e32 v3, 16, v10
	v_add_f32_e32 v19, v18, v3
	v_bfe_u32 v3, v19, 16, 1
	v_add3_u32 v20, v19, v3, s4
.LBB115_124:
	s_or_b64 exec, exec, s[6:7]
	v_cmp_o_f32_e32 vcc, v19, v19
	v_mov_b32_e32 v3, 0x7fc0
	s_movk_i32 s4, 0x7fff
	v_cndmask_b32_sdwa v30, v3, v20, vcc dst_sel:DWORD dst_unused:UNUSED_PAD src0_sel:DWORD src1_sel:WORD_1
	s_waitcnt lgkmcnt(0)
	v_lshlrev_b32_e32 v16, 16, v30
	v_add_f32_e32 v16, v17, v16
	v_bfe_u32 v17, v16, 16, 1
	v_add3_u32 v17, v16, v17, s4
	v_cmp_o_f32_e32 vcc, v16, v16
	s_nop 1
	v_cndmask_b32_sdwa v17, v3, v17, vcc dst_sel:DWORD dst_unused:UNUSED_PAD src0_sel:DWORD src1_sel:WORD_1
	v_lshlrev_b32_e32 v16, 16, v17
	v_add_f32_e32 v8, v8, v16
	v_bfe_u32 v16, v8, 16, 1
	v_add3_u32 v16, v8, v16, s4
	v_cmp_o_f32_e32 vcc, v8, v8
	s_nop 1
	v_cndmask_b32_sdwa v18, v3, v16, vcc dst_sel:DWORD dst_unused:UNUSED_PAD src0_sel:DWORD src1_sel:WORD_1
	;; [unrolled: 7-line block ×11, first 2 shown]
	v_lshlrev_b32_e32 v4, 16, v14
	v_add_f32_e32 v5, v15, v4
	v_bfe_u32 v4, v5, 16, 1
	v_add3_u32 v4, v5, v4, s4
	v_cmp_o_f32_e32 vcc, v5, v5
	s_and_saveexec_b64 s[4:5], s[2:3]
	s_cbranch_execz .LBB115_126
; %bb.125:
	v_mov_b32_e32 v5, 0
	ds_read_u16 v6, v5 offset:2
	s_waitcnt lgkmcnt(0)
	v_or_b32_e32 v6, 0x20000, v6
	global_store_dword v5, v6, s[8:9] offset:256 sc1
.LBB115_126:
	s_or_b64 exec, exec, s[4:5]
	v_cndmask_b32_sdwa v15, v3, v4, vcc dst_sel:DWORD dst_unused:UNUSED_PAD src0_sel:DWORD src1_sel:WORD_1
.LBB115_127:
	s_add_u32 s2, s10, s18
	s_addc_u32 s3, s11, s19
	s_mov_b64 s[4:5], -1
	s_and_b64 vcc, exec, s[16:17]
	s_waitcnt lgkmcnt(0)
	s_barrier
	s_cbranch_vccz .LBB115_129
; %bb.128:
	s_mov_b32 s4, 0x5040100
	v_perm_b32 v3, v18, v17, s4
	v_perm_b32 v4, v30, v10, s4
	ds_write2_b32 v1, v4, v3 offset1:1
	v_perm_b32 v3, v21, v11, s4
	v_perm_b32 v4, v20, v19, s4
	ds_write2_b32 v1, v4, v3 offset0:2 offset1:3
	v_perm_b32 v3, v23, v13, s4
	v_perm_b32 v4, v22, v12, s4
	ds_write2_b32 v1, v4, v3 offset0:4 offset1:5
	v_perm_b32 v3, v15, v14, s4
	ds_write_b32 v1, v3 offset:24
	s_waitcnt lgkmcnt(0)
	s_barrier
	ds_read_u16 v3, v2
	ds_read_u16 v4, v2 offset:256
	ds_read_u16 v5, v2 offset:512
	;; [unrolled: 1-line block ×13, first 2 shown]
	s_waitcnt lgkmcnt(13)
	global_store_short v2, v3, s[2:3]
	s_waitcnt lgkmcnt(12)
	global_store_short v2, v4, s[2:3] offset:256
	s_waitcnt lgkmcnt(11)
	global_store_short v2, v5, s[2:3] offset:512
	;; [unrolled: 2-line block ×13, first 2 shown]
	s_mov_b64 s[4:5], 0
.LBB115_129:
	s_andn2_b64 vcc, exec, s[4:5]
	s_cbranch_vccnz .LBB115_209
; %bb.130:
	s_mov_b32 s4, 0x5040100
	v_perm_b32 v3, v18, v17, s4
	v_perm_b32 v4, v30, v10, s4
	ds_write2_b32 v1, v4, v3 offset1:1
	v_perm_b32 v3, v21, v11, s4
	v_perm_b32 v4, v20, v19, s4
	ds_write2_b32 v1, v4, v3 offset0:2 offset1:3
	v_perm_b32 v3, v23, v13, s4
	v_perm_b32 v4, v22, v12, s4
	ds_write2_b32 v1, v4, v3 offset0:4 offset1:5
	v_perm_b32 v3, v15, v14, s4
	ds_write_b32 v1, v3 offset:24
	s_waitcnt lgkmcnt(0)
	s_barrier
	ds_read_u16 v8, v2
	ds_read_u16 v7, v2 offset:256
	ds_read_u16 v9, v2 offset:512
	;; [unrolled: 1-line block ×13, first 2 shown]
	v_mov_b32_e32 v3, 0
	v_lshl_add_u64 v[4:5], s[2:3], 0, v[2:3]
	v_cmp_gt_u32_e32 vcc, s20, v0
	s_and_saveexec_b64 s[2:3], vcc
	s_cbranch_execz .LBB115_132
; %bb.131:
	s_waitcnt lgkmcnt(13)
	global_store_short v[4:5], v8, off
.LBB115_132:
	s_or_b64 exec, exec, s[2:3]
	v_or_b32_e32 v1, 0x80, v0
	v_cmp_gt_u32_e32 vcc, s20, v1
	s_and_saveexec_b64 s[2:3], vcc
	s_cbranch_execz .LBB115_134
; %bb.133:
	s_waitcnt lgkmcnt(12)
	global_store_short v[4:5], v7, off offset:256
.LBB115_134:
	s_or_b64 exec, exec, s[2:3]
	v_or_b32_e32 v1, 0x100, v0
	v_cmp_gt_u32_e32 vcc, s20, v1
	s_and_saveexec_b64 s[2:3], vcc
	s_cbranch_execz .LBB115_136
; %bb.135:
	s_waitcnt lgkmcnt(11)
	global_store_short v[4:5], v9, off offset:512
.LBB115_136:
	;; [unrolled: 9-line block ×13, first 2 shown]
	s_or_b64 exec, exec, s[2:3]
	s_load_dword s0, s[0:1], 0x40
	s_waitcnt lgkmcnt(0)
	s_bfe_u32 s0, s0, 0x10008
	s_cmp_eq_u32 s0, 0
	s_cbranch_scc1 .LBB115_209
; %bb.159:
	s_add_u32 s0, s20, -1
	s_addc_u32 s1, s21, -1
	s_lshr_b64 s[2:3], s[0:1], 1
	s_lshr_b32 s5, s1, 1
	s_mul_hi_u32 s3, s2, 0x49249249
	s_mul_i32 s4, s2, 0x49249249
	s_mul_i32 s7, s5, 0x24924925
	s_mul_hi_u32 s2, s2, 0x24924925
	s_mul_hi_u32 s6, s5, 0x24924925
	s_add_u32 s2, s7, s2
	s_addc_u32 s6, s6, 0
	s_add_u32 s2, s4, s2
	s_addc_u32 s2, s3, 0
	;; [unrolled: 2-line block ×3, first 2 shown]
	s_mul_hi_u32 s4, s5, 0x49249249
	s_mul_i32 s5, s5, 0x49249249
	s_add_u32 s2, s5, s2
	s_addc_u32 s3, s4, s3
	v_mov_b32_e32 v1, v3
	s_lshr_b64 s[2:3], s[2:3], 1
	v_cmp_eq_u64_e32 vcc, s[2:3], v[0:1]
	s_and_saveexec_b64 s[2:3], vcc
	s_cbranch_execz .LBB115_209
; %bb.160:
	v_mul_hi_u32_u24_e32 v1, 14, v0
	v_mul_u32_u24_e32 v0, 14, v0
	v_mov_b32_e32 v2, s1
	v_sub_co_u32_e32 v0, vcc, s0, v0
	s_nop 1
	v_subb_co_u32_e32 v1, vcc, v2, v1, vcc
	v_cmp_lt_i64_e32 vcc, 6, v[0:1]
	s_and_saveexec_b64 s[0:1], vcc
	s_xor_b64 s[0:1], exec, s[0:1]
	s_cbranch_execz .LBB115_186
; %bb.161:
	v_cmp_lt_i64_e32 vcc, 9, v[0:1]
	s_and_saveexec_b64 s[2:3], vcc
	s_xor_b64 s[2:3], exec, s[2:3]
	s_cbranch_execz .LBB115_175
; %bb.162:
	;; [unrolled: 5-line block ×4, first 2 shown]
	v_mov_b32_e32 v0, 0
	global_store_short v0, v6, s[14:15]
                                        ; implicit-def: $vgpr19
.LBB115_165:
	s_andn2_saveexec_b64 s[6:7], s[6:7]
	s_cbranch_execz .LBB115_167
; %bb.166:
	v_mov_b32_e32 v0, 0
	global_store_short v0, v19, s[14:15]
.LBB115_167:
	s_or_b64 exec, exec, s[6:7]
                                        ; implicit-def: $vgpr13
                                        ; implicit-def: $vgpr0_vgpr1
                                        ; implicit-def: $vgpr18
.LBB115_168:
	s_andn2_saveexec_b64 s[4:5], s[4:5]
	s_cbranch_execz .LBB115_174
; %bb.169:
	v_cmp_lt_i64_e32 vcc, 10, v[0:1]
	s_and_saveexec_b64 s[6:7], vcc
	s_xor_b64 s[6:7], exec, s[6:7]
	s_cbranch_execz .LBB115_171
; %bb.170:
	v_mov_b32_e32 v0, 0
	global_store_short v0, v18, s[14:15]
                                        ; implicit-def: $vgpr13
.LBB115_171:
	s_andn2_saveexec_b64 s[6:7], s[6:7]
	s_cbranch_execz .LBB115_173
; %bb.172:
	v_mov_b32_e32 v0, 0
	global_store_short v0, v13, s[14:15]
.LBB115_173:
	s_or_b64 exec, exec, s[6:7]
.LBB115_174:
	s_or_b64 exec, exec, s[4:5]
                                        ; implicit-def: $vgpr16
                                        ; implicit-def: $vgpr0_vgpr1
                                        ; implicit-def: $vgpr14
                                        ; implicit-def: $vgpr17
.LBB115_175:
	s_andn2_saveexec_b64 s[2:3], s[2:3]
	s_cbranch_execz .LBB115_185
; %bb.176:
	v_cmp_lt_i64_e32 vcc, 7, v[0:1]
	s_and_saveexec_b64 s[4:5], vcc
	s_xor_b64 s[4:5], exec, s[4:5]
	s_cbranch_execz .LBB115_182
; %bb.177:
	v_cmp_lt_i64_e32 vcc, 8, v[0:1]
	s_and_saveexec_b64 s[6:7], vcc
	s_xor_b64 s[6:7], exec, s[6:7]
	s_cbranch_execz .LBB115_179
; %bb.178:
	v_mov_b32_e32 v0, 0
	global_store_short v0, v17, s[14:15]
                                        ; implicit-def: $vgpr14
.LBB115_179:
	s_andn2_saveexec_b64 s[6:7], s[6:7]
	s_cbranch_execz .LBB115_181
; %bb.180:
	v_mov_b32_e32 v0, 0
	global_store_short v0, v14, s[14:15]
.LBB115_181:
	s_or_b64 exec, exec, s[6:7]
                                        ; implicit-def: $vgpr16
.LBB115_182:
	s_andn2_saveexec_b64 s[4:5], s[4:5]
	s_cbranch_execz .LBB115_184
; %bb.183:
	v_mov_b32_e32 v0, 0
	global_store_short v0, v16, s[14:15]
.LBB115_184:
	s_or_b64 exec, exec, s[4:5]
.LBB115_185:
	s_or_b64 exec, exec, s[2:3]
                                        ; implicit-def: $vgpr0_vgpr1
                                        ; implicit-def: $vgpr12
                                        ; implicit-def: $vgpr7
                                        ; implicit-def: $vgpr9
                                        ; implicit-def: $vgpr8
                                        ; implicit-def: $vgpr11
                                        ; implicit-def: $vgpr10
                                        ; implicit-def: $vgpr15
.LBB115_186:
	s_andn2_saveexec_b64 s[0:1], s[0:1]
	s_cbranch_execz .LBB115_209
; %bb.187:
	v_cmp_lt_i64_e32 vcc, 3, v[0:1]
	s_and_saveexec_b64 s[0:1], vcc
	s_xor_b64 s[0:1], exec, s[0:1]
	s_cbranch_execz .LBB115_197
; %bb.188:
	v_cmp_lt_i64_e32 vcc, 4, v[0:1]
	s_and_saveexec_b64 s[2:3], vcc
	s_xor_b64 s[2:3], exec, s[2:3]
	;; [unrolled: 5-line block ×3, first 2 shown]
	s_cbranch_execz .LBB115_191
; %bb.190:
	v_mov_b32_e32 v0, 0
	global_store_short v0, v15, s[14:15]
                                        ; implicit-def: $vgpr11
.LBB115_191:
	s_andn2_saveexec_b64 s[4:5], s[4:5]
	s_cbranch_execz .LBB115_193
; %bb.192:
	v_mov_b32_e32 v0, 0
	global_store_short v0, v11, s[14:15]
.LBB115_193:
	s_or_b64 exec, exec, s[4:5]
                                        ; implicit-def: $vgpr12
.LBB115_194:
	s_andn2_saveexec_b64 s[2:3], s[2:3]
	s_cbranch_execz .LBB115_196
; %bb.195:
	v_mov_b32_e32 v0, 0
	global_store_short v0, v12, s[14:15]
.LBB115_196:
	s_or_b64 exec, exec, s[2:3]
                                        ; implicit-def: $vgpr0_vgpr1
                                        ; implicit-def: $vgpr7
                                        ; implicit-def: $vgpr9
                                        ; implicit-def: $vgpr8
                                        ; implicit-def: $vgpr10
.LBB115_197:
	s_andn2_saveexec_b64 s[0:1], s[0:1]
	s_cbranch_execz .LBB115_209
; %bb.198:
	v_cmp_lt_i64_e32 vcc, 1, v[0:1]
	s_and_saveexec_b64 s[0:1], vcc
	s_xor_b64 s[0:1], exec, s[0:1]
	s_cbranch_execz .LBB115_204
; %bb.199:
	v_cmp_lt_i64_e32 vcc, 2, v[0:1]
	s_and_saveexec_b64 s[2:3], vcc
	s_xor_b64 s[2:3], exec, s[2:3]
	s_cbranch_execz .LBB115_201
; %bb.200:
	v_mov_b32_e32 v0, 0
	global_store_short v0, v10, s[14:15]
                                        ; implicit-def: $vgpr9
.LBB115_201:
	s_andn2_saveexec_b64 s[2:3], s[2:3]
	s_cbranch_execz .LBB115_203
; %bb.202:
	v_mov_b32_e32 v0, 0
	global_store_short v0, v9, s[14:15]
.LBB115_203:
	s_or_b64 exec, exec, s[2:3]
                                        ; implicit-def: $vgpr7
                                        ; implicit-def: $vgpr0_vgpr1
                                        ; implicit-def: $vgpr8
.LBB115_204:
	s_andn2_saveexec_b64 s[0:1], s[0:1]
	s_cbranch_execz .LBB115_209
; %bb.205:
	v_cmp_ne_u64_e32 vcc, 1, v[0:1]
	s_and_saveexec_b64 s[0:1], vcc
	s_xor_b64 s[0:1], exec, s[0:1]
	s_cbranch_execz .LBB115_207
; %bb.206:
	v_mov_b32_e32 v0, 0
	global_store_short v0, v8, s[14:15]
                                        ; implicit-def: $vgpr7
.LBB115_207:
	s_andn2_saveexec_b64 s[0:1], s[0:1]
	s_cbranch_execz .LBB115_209
; %bb.208:
	v_mov_b32_e32 v0, 0
	global_store_short v0, v7, s[14:15]
.LBB115_209:
	s_endpgm
	.section	.rodata,"a",@progbits
	.p2align	6, 0x0
	.amdhsa_kernel _ZN7rocprim17ROCPRIM_304000_NS6detail20lookback_scan_kernelILNS1_25lookback_scan_determinismE0ELb0ENS1_19wrapped_scan_configINS0_14default_configEN3c108BFloat16EEEPKS7_PS7_St4plusIS7_ES7_S7_NS1_19lookback_scan_stateIS7_Lb0ELb1EEEEEvT2_T3_mT5_T4_T7_jPT6_SM_bb
		.amdhsa_group_segment_fixed_size 3584
		.amdhsa_private_segment_fixed_size 0
		.amdhsa_kernarg_size 68
		.amdhsa_user_sgpr_count 2
		.amdhsa_user_sgpr_dispatch_ptr 0
		.amdhsa_user_sgpr_queue_ptr 0
		.amdhsa_user_sgpr_kernarg_segment_ptr 1
		.amdhsa_user_sgpr_dispatch_id 0
		.amdhsa_user_sgpr_kernarg_preload_length 0
		.amdhsa_user_sgpr_kernarg_preload_offset 0
		.amdhsa_user_sgpr_private_segment_size 0
		.amdhsa_uses_dynamic_stack 0
		.amdhsa_enable_private_segment 0
		.amdhsa_system_sgpr_workgroup_id_x 1
		.amdhsa_system_sgpr_workgroup_id_y 0
		.amdhsa_system_sgpr_workgroup_id_z 0
		.amdhsa_system_sgpr_workgroup_info 0
		.amdhsa_system_vgpr_workitem_id 0
		.amdhsa_next_free_vgpr 53
		.amdhsa_next_free_sgpr 24
		.amdhsa_accum_offset 56
		.amdhsa_reserve_vcc 1
		.amdhsa_float_round_mode_32 0
		.amdhsa_float_round_mode_16_64 0
		.amdhsa_float_denorm_mode_32 3
		.amdhsa_float_denorm_mode_16_64 3
		.amdhsa_dx10_clamp 1
		.amdhsa_ieee_mode 1
		.amdhsa_fp16_overflow 0
		.amdhsa_tg_split 0
		.amdhsa_exception_fp_ieee_invalid_op 0
		.amdhsa_exception_fp_denorm_src 0
		.amdhsa_exception_fp_ieee_div_zero 0
		.amdhsa_exception_fp_ieee_overflow 0
		.amdhsa_exception_fp_ieee_underflow 0
		.amdhsa_exception_fp_ieee_inexact 0
		.amdhsa_exception_int_div_zero 0
	.end_amdhsa_kernel
	.section	.text._ZN7rocprim17ROCPRIM_304000_NS6detail20lookback_scan_kernelILNS1_25lookback_scan_determinismE0ELb0ENS1_19wrapped_scan_configINS0_14default_configEN3c108BFloat16EEEPKS7_PS7_St4plusIS7_ES7_S7_NS1_19lookback_scan_stateIS7_Lb0ELb1EEEEEvT2_T3_mT5_T4_T7_jPT6_SM_bb,"axG",@progbits,_ZN7rocprim17ROCPRIM_304000_NS6detail20lookback_scan_kernelILNS1_25lookback_scan_determinismE0ELb0ENS1_19wrapped_scan_configINS0_14default_configEN3c108BFloat16EEEPKS7_PS7_St4plusIS7_ES7_S7_NS1_19lookback_scan_stateIS7_Lb0ELb1EEEEEvT2_T3_mT5_T4_T7_jPT6_SM_bb,comdat
.Lfunc_end115:
	.size	_ZN7rocprim17ROCPRIM_304000_NS6detail20lookback_scan_kernelILNS1_25lookback_scan_determinismE0ELb0ENS1_19wrapped_scan_configINS0_14default_configEN3c108BFloat16EEEPKS7_PS7_St4plusIS7_ES7_S7_NS1_19lookback_scan_stateIS7_Lb0ELb1EEEEEvT2_T3_mT5_T4_T7_jPT6_SM_bb, .Lfunc_end115-_ZN7rocprim17ROCPRIM_304000_NS6detail20lookback_scan_kernelILNS1_25lookback_scan_determinismE0ELb0ENS1_19wrapped_scan_configINS0_14default_configEN3c108BFloat16EEEPKS7_PS7_St4plusIS7_ES7_S7_NS1_19lookback_scan_stateIS7_Lb0ELb1EEEEEvT2_T3_mT5_T4_T7_jPT6_SM_bb
                                        ; -- End function
	.set _ZN7rocprim17ROCPRIM_304000_NS6detail20lookback_scan_kernelILNS1_25lookback_scan_determinismE0ELb0ENS1_19wrapped_scan_configINS0_14default_configEN3c108BFloat16EEEPKS7_PS7_St4plusIS7_ES7_S7_NS1_19lookback_scan_stateIS7_Lb0ELb1EEEEEvT2_T3_mT5_T4_T7_jPT6_SM_bb.num_vgpr, 53
	.set _ZN7rocprim17ROCPRIM_304000_NS6detail20lookback_scan_kernelILNS1_25lookback_scan_determinismE0ELb0ENS1_19wrapped_scan_configINS0_14default_configEN3c108BFloat16EEEPKS7_PS7_St4plusIS7_ES7_S7_NS1_19lookback_scan_stateIS7_Lb0ELb1EEEEEvT2_T3_mT5_T4_T7_jPT6_SM_bb.num_agpr, 0
	.set _ZN7rocprim17ROCPRIM_304000_NS6detail20lookback_scan_kernelILNS1_25lookback_scan_determinismE0ELb0ENS1_19wrapped_scan_configINS0_14default_configEN3c108BFloat16EEEPKS7_PS7_St4plusIS7_ES7_S7_NS1_19lookback_scan_stateIS7_Lb0ELb1EEEEEvT2_T3_mT5_T4_T7_jPT6_SM_bb.numbered_sgpr, 24
	.set _ZN7rocprim17ROCPRIM_304000_NS6detail20lookback_scan_kernelILNS1_25lookback_scan_determinismE0ELb0ENS1_19wrapped_scan_configINS0_14default_configEN3c108BFloat16EEEPKS7_PS7_St4plusIS7_ES7_S7_NS1_19lookback_scan_stateIS7_Lb0ELb1EEEEEvT2_T3_mT5_T4_T7_jPT6_SM_bb.num_named_barrier, 0
	.set _ZN7rocprim17ROCPRIM_304000_NS6detail20lookback_scan_kernelILNS1_25lookback_scan_determinismE0ELb0ENS1_19wrapped_scan_configINS0_14default_configEN3c108BFloat16EEEPKS7_PS7_St4plusIS7_ES7_S7_NS1_19lookback_scan_stateIS7_Lb0ELb1EEEEEvT2_T3_mT5_T4_T7_jPT6_SM_bb.private_seg_size, 0
	.set _ZN7rocprim17ROCPRIM_304000_NS6detail20lookback_scan_kernelILNS1_25lookback_scan_determinismE0ELb0ENS1_19wrapped_scan_configINS0_14default_configEN3c108BFloat16EEEPKS7_PS7_St4plusIS7_ES7_S7_NS1_19lookback_scan_stateIS7_Lb0ELb1EEEEEvT2_T3_mT5_T4_T7_jPT6_SM_bb.uses_vcc, 1
	.set _ZN7rocprim17ROCPRIM_304000_NS6detail20lookback_scan_kernelILNS1_25lookback_scan_determinismE0ELb0ENS1_19wrapped_scan_configINS0_14default_configEN3c108BFloat16EEEPKS7_PS7_St4plusIS7_ES7_S7_NS1_19lookback_scan_stateIS7_Lb0ELb1EEEEEvT2_T3_mT5_T4_T7_jPT6_SM_bb.uses_flat_scratch, 0
	.set _ZN7rocprim17ROCPRIM_304000_NS6detail20lookback_scan_kernelILNS1_25lookback_scan_determinismE0ELb0ENS1_19wrapped_scan_configINS0_14default_configEN3c108BFloat16EEEPKS7_PS7_St4plusIS7_ES7_S7_NS1_19lookback_scan_stateIS7_Lb0ELb1EEEEEvT2_T3_mT5_T4_T7_jPT6_SM_bb.has_dyn_sized_stack, 0
	.set _ZN7rocprim17ROCPRIM_304000_NS6detail20lookback_scan_kernelILNS1_25lookback_scan_determinismE0ELb0ENS1_19wrapped_scan_configINS0_14default_configEN3c108BFloat16EEEPKS7_PS7_St4plusIS7_ES7_S7_NS1_19lookback_scan_stateIS7_Lb0ELb1EEEEEvT2_T3_mT5_T4_T7_jPT6_SM_bb.has_recursion, 0
	.set _ZN7rocprim17ROCPRIM_304000_NS6detail20lookback_scan_kernelILNS1_25lookback_scan_determinismE0ELb0ENS1_19wrapped_scan_configINS0_14default_configEN3c108BFloat16EEEPKS7_PS7_St4plusIS7_ES7_S7_NS1_19lookback_scan_stateIS7_Lb0ELb1EEEEEvT2_T3_mT5_T4_T7_jPT6_SM_bb.has_indirect_call, 0
	.section	.AMDGPU.csdata,"",@progbits
; Kernel info:
; codeLenInByte = 9136
; TotalNumSgprs: 30
; NumVgprs: 53
; NumAgprs: 0
; TotalNumVgprs: 53
; ScratchSize: 0
; MemoryBound: 0
; FloatMode: 240
; IeeeMode: 1
; LDSByteSize: 3584 bytes/workgroup (compile time only)
; SGPRBlocks: 3
; VGPRBlocks: 6
; NumSGPRsForWavesPerEU: 30
; NumVGPRsForWavesPerEU: 53
; AccumOffset: 56
; Occupancy: 8
; WaveLimiterHint : 1
; COMPUTE_PGM_RSRC2:SCRATCH_EN: 0
; COMPUTE_PGM_RSRC2:USER_SGPR: 2
; COMPUTE_PGM_RSRC2:TRAP_HANDLER: 0
; COMPUTE_PGM_RSRC2:TGID_X_EN: 1
; COMPUTE_PGM_RSRC2:TGID_Y_EN: 0
; COMPUTE_PGM_RSRC2:TGID_Z_EN: 0
; COMPUTE_PGM_RSRC2:TIDIG_COMP_CNT: 0
; COMPUTE_PGM_RSRC3_GFX90A:ACCUM_OFFSET: 13
; COMPUTE_PGM_RSRC3_GFX90A:TG_SPLIT: 0
	.section	.text._ZN7rocprim17ROCPRIM_304000_NS6detail16transform_kernelINS1_24wrapped_transform_configINS0_14default_configEN3c108BFloat16EEES6_PS6_S8_NS0_8identityIS6_EEEEvT1_mT2_T3_,"axG",@progbits,_ZN7rocprim17ROCPRIM_304000_NS6detail16transform_kernelINS1_24wrapped_transform_configINS0_14default_configEN3c108BFloat16EEES6_PS6_S8_NS0_8identityIS6_EEEEvT1_mT2_T3_,comdat
	.protected	_ZN7rocprim17ROCPRIM_304000_NS6detail16transform_kernelINS1_24wrapped_transform_configINS0_14default_configEN3c108BFloat16EEES6_PS6_S8_NS0_8identityIS6_EEEEvT1_mT2_T3_ ; -- Begin function _ZN7rocprim17ROCPRIM_304000_NS6detail16transform_kernelINS1_24wrapped_transform_configINS0_14default_configEN3c108BFloat16EEES6_PS6_S8_NS0_8identityIS6_EEEEvT1_mT2_T3_
	.globl	_ZN7rocprim17ROCPRIM_304000_NS6detail16transform_kernelINS1_24wrapped_transform_configINS0_14default_configEN3c108BFloat16EEES6_PS6_S8_NS0_8identityIS6_EEEEvT1_mT2_T3_
	.p2align	8
	.type	_ZN7rocprim17ROCPRIM_304000_NS6detail16transform_kernelINS1_24wrapped_transform_configINS0_14default_configEN3c108BFloat16EEES6_PS6_S8_NS0_8identityIS6_EEEEvT1_mT2_T3_,@function
_ZN7rocprim17ROCPRIM_304000_NS6detail16transform_kernelINS1_24wrapped_transform_configINS0_14default_configEN3c108BFloat16EEES6_PS6_S8_NS0_8identityIS6_EEEEvT1_mT2_T3_: ; @_ZN7rocprim17ROCPRIM_304000_NS6detail16transform_kernelINS1_24wrapped_transform_configINS0_14default_configEN3c108BFloat16EEES6_PS6_S8_NS0_8identityIS6_EEEEvT1_mT2_T3_
; %bb.0:
	s_load_dword s3, s[0:1], 0x20
	s_load_dwordx4 s[4:7], s[0:1], 0x0
	s_load_dwordx2 s[8:9], s[0:1], 0x10
	s_lshl_b32 s0, s2, 9
	s_mov_b32 s1, 0
	s_waitcnt lgkmcnt(0)
	s_add_i32 s3, s3, -1
	s_lshl_b64 s[10:11], s[0:1], 1
	s_add_u32 s4, s4, s10
	s_addc_u32 s5, s5, s11
	v_mov_b32_e32 v3, 0
	v_lshlrev_b32_e32 v2, 1, v0
	s_cmp_lg_u32 s2, s3
	v_lshl_add_u64 v[4:5], s[4:5], 0, v[2:3]
	s_cbranch_scc0 .LBB116_2
; %bb.1:
	global_load_ushort v1, v[4:5], off
	global_load_ushort v3, v[4:5], off offset:256
	global_load_ushort v7, v[4:5], off offset:512
	;; [unrolled: 1-line block ×3, first 2 shown]
	s_add_u32 s4, s8, s10
	s_addc_u32 s5, s9, s11
	s_waitcnt vmcnt(3)
	global_store_short v2, v1, s[4:5]
	s_waitcnt vmcnt(3)
	global_store_short v2, v3, s[4:5] offset:256
	s_waitcnt vmcnt(3)
	global_store_short v2, v7, s[4:5] offset:512
	s_mov_b64 s[4:5], -1
	s_cbranch_execz .LBB116_3
	s_branch .LBB116_16
.LBB116_2:
	s_mov_b64 s[4:5], 0
                                        ; implicit-def: $vgpr6
.LBB116_3:
	s_sub_i32 s6, s6, s0
	v_cmp_gt_u32_e32 vcc, s6, v0
                                        ; implicit-def: $vgpr7
	s_and_saveexec_b64 s[0:1], vcc
	s_cbranch_execz .LBB116_5
; %bb.4:
	global_load_ushort v7, v[4:5], off
.LBB116_5:
	s_or_b64 exec, exec, s[0:1]
	v_or_b32_e32 v1, 0x80, v0
	v_cmp_gt_u32_e64 s[0:1], s6, v1
                                        ; implicit-def: $vgpr8
	s_and_saveexec_b64 s[2:3], s[0:1]
	s_cbranch_execz .LBB116_7
; %bb.6:
	global_load_ushort v8, v[4:5], off offset:256
.LBB116_7:
	s_or_b64 exec, exec, s[2:3]
	v_or_b32_e32 v1, 0x100, v0
	v_cmp_gt_u32_e64 s[2:3], s6, v1
                                        ; implicit-def: $vgpr9
	s_and_saveexec_b64 s[4:5], s[2:3]
	s_cbranch_execz .LBB116_9
; %bb.8:
	global_load_ushort v9, v[4:5], off offset:512
.LBB116_9:
	s_or_b64 exec, exec, s[4:5]
	v_or_b32_e32 v0, 0x180, v0
	v_cmp_gt_u32_e64 s[4:5], s6, v0
                                        ; implicit-def: $vgpr6
	s_and_saveexec_b64 s[6:7], s[4:5]
	s_cbranch_execz .LBB116_11
; %bb.10:
	global_load_ushort v6, v[4:5], off offset:768
.LBB116_11:
	s_or_b64 exec, exec, s[6:7]
	s_add_u32 s6, s8, s10
	s_addc_u32 s7, s9, s11
	v_mov_b32_e32 v3, 0
	v_lshl_add_u64 v[0:1], s[6:7], 0, v[2:3]
	s_and_saveexec_b64 s[6:7], vcc
	s_cbranch_execnz .LBB116_19
; %bb.12:
	s_or_b64 exec, exec, s[6:7]
	s_and_saveexec_b64 s[6:7], s[0:1]
	s_cbranch_execnz .LBB116_20
.LBB116_13:
	s_or_b64 exec, exec, s[6:7]
	s_and_saveexec_b64 s[0:1], s[2:3]
	s_cbranch_execz .LBB116_15
.LBB116_14:
	s_waitcnt vmcnt(0)
	global_store_short v[0:1], v9, off offset:512
.LBB116_15:
	s_or_b64 exec, exec, s[0:1]
.LBB116_16:
	s_and_saveexec_b64 s[0:1], s[4:5]
	s_cbranch_execnz .LBB116_18
; %bb.17:
	s_endpgm
.LBB116_18:
	s_add_u32 s0, s8, s10
	s_addc_u32 s1, s9, s11
	s_waitcnt vmcnt(0)
	global_store_short v2, v6, s[0:1] offset:768
	s_endpgm
.LBB116_19:
	s_waitcnt vmcnt(0)
	global_store_short v[0:1], v7, off
	s_or_b64 exec, exec, s[6:7]
	s_and_saveexec_b64 s[6:7], s[0:1]
	s_cbranch_execz .LBB116_13
.LBB116_20:
	s_waitcnt vmcnt(0)
	global_store_short v[0:1], v8, off offset:256
	s_or_b64 exec, exec, s[6:7]
	s_and_saveexec_b64 s[0:1], s[2:3]
	s_cbranch_execnz .LBB116_14
	s_branch .LBB116_15
	.section	.rodata,"a",@progbits
	.p2align	6, 0x0
	.amdhsa_kernel _ZN7rocprim17ROCPRIM_304000_NS6detail16transform_kernelINS1_24wrapped_transform_configINS0_14default_configEN3c108BFloat16EEES6_PS6_S8_NS0_8identityIS6_EEEEvT1_mT2_T3_
		.amdhsa_group_segment_fixed_size 0
		.amdhsa_private_segment_fixed_size 0
		.amdhsa_kernarg_size 288
		.amdhsa_user_sgpr_count 2
		.amdhsa_user_sgpr_dispatch_ptr 0
		.amdhsa_user_sgpr_queue_ptr 0
		.amdhsa_user_sgpr_kernarg_segment_ptr 1
		.amdhsa_user_sgpr_dispatch_id 0
		.amdhsa_user_sgpr_kernarg_preload_length 0
		.amdhsa_user_sgpr_kernarg_preload_offset 0
		.amdhsa_user_sgpr_private_segment_size 0
		.amdhsa_uses_dynamic_stack 0
		.amdhsa_enable_private_segment 0
		.amdhsa_system_sgpr_workgroup_id_x 1
		.amdhsa_system_sgpr_workgroup_id_y 0
		.amdhsa_system_sgpr_workgroup_id_z 0
		.amdhsa_system_sgpr_workgroup_info 0
		.amdhsa_system_vgpr_workitem_id 0
		.amdhsa_next_free_vgpr 10
		.amdhsa_next_free_sgpr 12
		.amdhsa_accum_offset 12
		.amdhsa_reserve_vcc 1
		.amdhsa_float_round_mode_32 0
		.amdhsa_float_round_mode_16_64 0
		.amdhsa_float_denorm_mode_32 3
		.amdhsa_float_denorm_mode_16_64 3
		.amdhsa_dx10_clamp 1
		.amdhsa_ieee_mode 1
		.amdhsa_fp16_overflow 0
		.amdhsa_tg_split 0
		.amdhsa_exception_fp_ieee_invalid_op 0
		.amdhsa_exception_fp_denorm_src 0
		.amdhsa_exception_fp_ieee_div_zero 0
		.amdhsa_exception_fp_ieee_overflow 0
		.amdhsa_exception_fp_ieee_underflow 0
		.amdhsa_exception_fp_ieee_inexact 0
		.amdhsa_exception_int_div_zero 0
	.end_amdhsa_kernel
	.section	.text._ZN7rocprim17ROCPRIM_304000_NS6detail16transform_kernelINS1_24wrapped_transform_configINS0_14default_configEN3c108BFloat16EEES6_PS6_S8_NS0_8identityIS6_EEEEvT1_mT2_T3_,"axG",@progbits,_ZN7rocprim17ROCPRIM_304000_NS6detail16transform_kernelINS1_24wrapped_transform_configINS0_14default_configEN3c108BFloat16EEES6_PS6_S8_NS0_8identityIS6_EEEEvT1_mT2_T3_,comdat
.Lfunc_end116:
	.size	_ZN7rocprim17ROCPRIM_304000_NS6detail16transform_kernelINS1_24wrapped_transform_configINS0_14default_configEN3c108BFloat16EEES6_PS6_S8_NS0_8identityIS6_EEEEvT1_mT2_T3_, .Lfunc_end116-_ZN7rocprim17ROCPRIM_304000_NS6detail16transform_kernelINS1_24wrapped_transform_configINS0_14default_configEN3c108BFloat16EEES6_PS6_S8_NS0_8identityIS6_EEEEvT1_mT2_T3_
                                        ; -- End function
	.set _ZN7rocprim17ROCPRIM_304000_NS6detail16transform_kernelINS1_24wrapped_transform_configINS0_14default_configEN3c108BFloat16EEES6_PS6_S8_NS0_8identityIS6_EEEEvT1_mT2_T3_.num_vgpr, 10
	.set _ZN7rocprim17ROCPRIM_304000_NS6detail16transform_kernelINS1_24wrapped_transform_configINS0_14default_configEN3c108BFloat16EEES6_PS6_S8_NS0_8identityIS6_EEEEvT1_mT2_T3_.num_agpr, 0
	.set _ZN7rocprim17ROCPRIM_304000_NS6detail16transform_kernelINS1_24wrapped_transform_configINS0_14default_configEN3c108BFloat16EEES6_PS6_S8_NS0_8identityIS6_EEEEvT1_mT2_T3_.numbered_sgpr, 12
	.set _ZN7rocprim17ROCPRIM_304000_NS6detail16transform_kernelINS1_24wrapped_transform_configINS0_14default_configEN3c108BFloat16EEES6_PS6_S8_NS0_8identityIS6_EEEEvT1_mT2_T3_.num_named_barrier, 0
	.set _ZN7rocprim17ROCPRIM_304000_NS6detail16transform_kernelINS1_24wrapped_transform_configINS0_14default_configEN3c108BFloat16EEES6_PS6_S8_NS0_8identityIS6_EEEEvT1_mT2_T3_.private_seg_size, 0
	.set _ZN7rocprim17ROCPRIM_304000_NS6detail16transform_kernelINS1_24wrapped_transform_configINS0_14default_configEN3c108BFloat16EEES6_PS6_S8_NS0_8identityIS6_EEEEvT1_mT2_T3_.uses_vcc, 1
	.set _ZN7rocprim17ROCPRIM_304000_NS6detail16transform_kernelINS1_24wrapped_transform_configINS0_14default_configEN3c108BFloat16EEES6_PS6_S8_NS0_8identityIS6_EEEEvT1_mT2_T3_.uses_flat_scratch, 0
	.set _ZN7rocprim17ROCPRIM_304000_NS6detail16transform_kernelINS1_24wrapped_transform_configINS0_14default_configEN3c108BFloat16EEES6_PS6_S8_NS0_8identityIS6_EEEEvT1_mT2_T3_.has_dyn_sized_stack, 0
	.set _ZN7rocprim17ROCPRIM_304000_NS6detail16transform_kernelINS1_24wrapped_transform_configINS0_14default_configEN3c108BFloat16EEES6_PS6_S8_NS0_8identityIS6_EEEEvT1_mT2_T3_.has_recursion, 0
	.set _ZN7rocprim17ROCPRIM_304000_NS6detail16transform_kernelINS1_24wrapped_transform_configINS0_14default_configEN3c108BFloat16EEES6_PS6_S8_NS0_8identityIS6_EEEEvT1_mT2_T3_.has_indirect_call, 0
	.section	.AMDGPU.csdata,"",@progbits
; Kernel info:
; codeLenInByte = 460
; TotalNumSgprs: 18
; NumVgprs: 10
; NumAgprs: 0
; TotalNumVgprs: 10
; ScratchSize: 0
; MemoryBound: 0
; FloatMode: 240
; IeeeMode: 1
; LDSByteSize: 0 bytes/workgroup (compile time only)
; SGPRBlocks: 2
; VGPRBlocks: 1
; NumSGPRsForWavesPerEU: 18
; NumVGPRsForWavesPerEU: 10
; AccumOffset: 12
; Occupancy: 8
; WaveLimiterHint : 1
; COMPUTE_PGM_RSRC2:SCRATCH_EN: 0
; COMPUTE_PGM_RSRC2:USER_SGPR: 2
; COMPUTE_PGM_RSRC2:TRAP_HANDLER: 0
; COMPUTE_PGM_RSRC2:TGID_X_EN: 1
; COMPUTE_PGM_RSRC2:TGID_Y_EN: 0
; COMPUTE_PGM_RSRC2:TGID_Z_EN: 0
; COMPUTE_PGM_RSRC2:TIDIG_COMP_CNT: 0
; COMPUTE_PGM_RSRC3_GFX90A:ACCUM_OFFSET: 2
; COMPUTE_PGM_RSRC3_GFX90A:TG_SPLIT: 0
	.section	.text._ZN7rocprim17ROCPRIM_304000_NS6detail18single_scan_kernelILb0ENS1_19wrapped_scan_configINS0_14default_configEN3c108BFloat16EEEPKS6_PS6_St4plusIS6_ES6_S6_EEvT1_mT4_T2_T3_,"axG",@progbits,_ZN7rocprim17ROCPRIM_304000_NS6detail18single_scan_kernelILb0ENS1_19wrapped_scan_configINS0_14default_configEN3c108BFloat16EEEPKS6_PS6_St4plusIS6_ES6_S6_EEvT1_mT4_T2_T3_,comdat
	.protected	_ZN7rocprim17ROCPRIM_304000_NS6detail18single_scan_kernelILb0ENS1_19wrapped_scan_configINS0_14default_configEN3c108BFloat16EEEPKS6_PS6_St4plusIS6_ES6_S6_EEvT1_mT4_T2_T3_ ; -- Begin function _ZN7rocprim17ROCPRIM_304000_NS6detail18single_scan_kernelILb0ENS1_19wrapped_scan_configINS0_14default_configEN3c108BFloat16EEEPKS6_PS6_St4plusIS6_ES6_S6_EEvT1_mT4_T2_T3_
	.globl	_ZN7rocprim17ROCPRIM_304000_NS6detail18single_scan_kernelILb0ENS1_19wrapped_scan_configINS0_14default_configEN3c108BFloat16EEEPKS6_PS6_St4plusIS6_ES6_S6_EEvT1_mT4_T2_T3_
	.p2align	8
	.type	_ZN7rocprim17ROCPRIM_304000_NS6detail18single_scan_kernelILb0ENS1_19wrapped_scan_configINS0_14default_configEN3c108BFloat16EEEPKS6_PS6_St4plusIS6_ES6_S6_EEvT1_mT4_T2_T3_,@function
_ZN7rocprim17ROCPRIM_304000_NS6detail18single_scan_kernelILb0ENS1_19wrapped_scan_configINS0_14default_configEN3c108BFloat16EEEPKS6_PS6_St4plusIS6_ES6_S6_EEvT1_mT4_T2_T3_: ; @_ZN7rocprim17ROCPRIM_304000_NS6detail18single_scan_kernelILb0ENS1_19wrapped_scan_configINS0_14default_configEN3c108BFloat16EEEPKS6_PS6_St4plusIS6_ES6_S6_EEvT1_mT4_T2_T3_
; %bb.0:
	s_load_dwordx4 s[24:27], s[0:1], 0x0
	v_mov_b32_e32 v3, 0
	v_lshlrev_b32_e32 v2, 1, v0
	s_waitcnt lgkmcnt(0)
	global_load_ushort v1, v3, s[24:25]
	v_lshl_add_u64 v[4:5], s[24:25], 0, v[2:3]
	v_cmp_gt_u32_e64 s[28:29], s26, v0
	s_waitcnt vmcnt(0)
	v_mov_b32_e32 v3, v1
	s_and_saveexec_b64 s[2:3], s[28:29]
	s_cbranch_execz .LBB117_2
; %bb.1:
	global_load_ushort v3, v[4:5], off
.LBB117_2:
	s_or_b64 exec, exec, s[2:3]
	v_or_b32_e32 v6, 0x80, v0
	v_cmp_gt_u32_e64 s[2:3], s26, v6
	v_mov_b32_e32 v6, v1
	s_and_saveexec_b64 s[4:5], s[2:3]
	s_cbranch_execz .LBB117_4
; %bb.3:
	global_load_ushort v6, v[4:5], off offset:256
.LBB117_4:
	s_or_b64 exec, exec, s[4:5]
	v_or_b32_e32 v7, 0x100, v0
	v_cmp_gt_u32_e64 s[4:5], s26, v7
	v_mov_b32_e32 v7, v1
	s_and_saveexec_b64 s[6:7], s[4:5]
	s_cbranch_execz .LBB117_6
; %bb.5:
	global_load_ushort v7, v[4:5], off offset:512
.LBB117_6:
	;; [unrolled: 9-line block ×12, first 2 shown]
	s_or_b64 exec, exec, s[30:31]
	v_or_b32_e32 v18, 0x680, v0
	v_cmp_gt_u32_e64 s[26:27], s26, v18
	s_and_saveexec_b64 s[30:31], s[26:27]
	s_cbranch_execz .LBB117_28
; %bb.27:
	global_load_ushort v1, v[4:5], off offset:3328
.LBB117_28:
	s_or_b64 exec, exec, s[30:31]
	s_waitcnt vmcnt(0)
	ds_write_b16 v2, v3
	ds_write_b16 v2, v6 offset:256
	ds_write_b16 v2, v7 offset:512
	;; [unrolled: 1-line block ×13, first 2 shown]
	v_mad_u32_u24 v1, v0, 26, v2
	s_waitcnt lgkmcnt(0)
	s_barrier
	ds_read2_b32 v[4:5], v1 offset1:1
	ds_read2_b32 v[6:7], v1 offset0:2 offset1:3
	ds_read2_b32 v[10:11], v1 offset0:4 offset1:5
	ds_read_b32 v13, v1 offset:24
	s_movk_i32 s33, 0x7fff
	s_waitcnt lgkmcnt(3)
	v_and_b32_e32 v15, 0xffff0000, v4
	v_lshlrev_b32_e32 v18, 16, v4
	v_add_f32_e32 v16, v15, v18
	v_bfe_u32 v1, v16, 16, 1
	v_add3_u32 v17, v16, v1, s33
	v_and_b32_e32 v1, 0xffff0000, v17
	v_mov_b32_e32 v19, 0x7fc00000
	v_cmp_o_f32_e32 vcc, v16, v16
	v_lshlrev_b32_e32 v14, 16, v5
	v_mov_b32_e32 v23, 0x7fc0
	v_cndmask_b32_e32 v1, v19, v1, vcc
	v_add_f32_e32 v1, v1, v14
	v_bfe_u32 v3, v1, 16, 1
	v_add3_u32 v3, v1, v3, s33
	v_and_b32_e32 v3, 0xffff0000, v3
	v_cmp_o_f32_e32 vcc, v1, v1
	v_and_b32_e32 v1, 0xffff0000, v5
	s_waitcnt lgkmcnt(0)
	v_cndmask_b32_e32 v3, v19, v3, vcc
	v_add_f32_e32 v3, v3, v1
	v_bfe_u32 v5, v3, 16, 1
	v_add3_u32 v5, v3, v5, s33
	v_and_b32_e32 v5, 0xffff0000, v5
	v_cmp_o_f32_e32 vcc, v3, v3
	v_lshlrev_b32_e32 v3, 16, v6
	s_barrier
	v_cndmask_b32_e32 v5, v19, v5, vcc
	v_add_f32_e32 v5, v5, v3
	v_bfe_u32 v8, v5, 16, 1
	v_add3_u32 v8, v5, v8, s33
	v_and_b32_e32 v8, 0xffff0000, v8
	v_cmp_o_f32_e32 vcc, v5, v5
	v_and_b32_e32 v5, 0xffff0000, v6
	s_nop 0
	v_cndmask_b32_e32 v8, v19, v8, vcc
	v_add_f32_e32 v6, v8, v5
	v_bfe_u32 v8, v6, 16, 1
	v_add3_u32 v8, v6, v8, s33
	v_and_b32_e32 v8, 0xffff0000, v8
	v_cmp_o_f32_e32 vcc, v6, v6
	v_lshlrev_b32_e32 v6, 16, v7
	v_and_b32_e32 v7, 0xffff0000, v7
	v_cndmask_b32_e32 v8, v19, v8, vcc
	v_add_f32_e32 v8, v8, v6
	v_bfe_u32 v9, v8, 16, 1
	v_add3_u32 v9, v8, v9, s33
	v_and_b32_e32 v9, 0xffff0000, v9
	v_cmp_o_f32_e32 vcc, v8, v8
	s_nop 1
	v_cndmask_b32_e32 v8, v19, v9, vcc
	v_add_f32_e32 v8, v8, v7
	v_bfe_u32 v9, v8, 16, 1
	v_add3_u32 v9, v8, v9, s33
	v_and_b32_e32 v9, 0xffff0000, v9
	v_cmp_o_f32_e32 vcc, v8, v8
	v_lshlrev_b32_e32 v8, 16, v10
	s_nop 0
	v_cndmask_b32_e32 v9, v19, v9, vcc
	v_add_f32_e32 v9, v9, v8
	v_bfe_u32 v12, v9, 16, 1
	v_add3_u32 v12, v9, v12, s33
	v_and_b32_e32 v12, 0xffff0000, v12
	v_cmp_o_f32_e32 vcc, v9, v9
	v_and_b32_e32 v9, 0xffff0000, v10
	s_nop 0
	v_cndmask_b32_e32 v12, v19, v12, vcc
	v_add_f32_e32 v10, v12, v9
	v_bfe_u32 v12, v10, 16, 1
	v_add3_u32 v12, v10, v12, s33
	v_and_b32_e32 v12, 0xffff0000, v12
	v_cmp_o_f32_e32 vcc, v10, v10
	v_lshlrev_b32_e32 v10, 16, v11
	v_and_b32_e32 v11, 0xffff0000, v11
	v_cndmask_b32_e32 v12, v19, v12, vcc
	v_add_f32_e32 v12, v12, v10
	v_bfe_u32 v20, v12, 16, 1
	v_add3_u32 v20, v12, v20, s33
	v_and_b32_e32 v20, 0xffff0000, v20
	v_cmp_o_f32_e32 vcc, v12, v12
	s_nop 1
	v_cndmask_b32_e32 v12, v19, v20, vcc
	v_add_f32_e32 v12, v12, v11
	v_bfe_u32 v20, v12, 16, 1
	v_add3_u32 v20, v12, v20, s33
	v_and_b32_e32 v20, 0xffff0000, v20
	v_cmp_o_f32_e32 vcc, v12, v12
	v_lshlrev_b32_e32 v12, 16, v13
	v_and_b32_e32 v13, 0xffff0000, v13
	v_cndmask_b32_e32 v20, v19, v20, vcc
	v_add_f32_e32 v20, v20, v12
	v_bfe_u32 v21, v20, 16, 1
	v_add3_u32 v21, v20, v21, s33
	v_and_b32_e32 v21, 0xffff0000, v21
	v_cmp_o_f32_e32 vcc, v20, v20
	s_nop 1
	v_cndmask_b32_e32 v19, v19, v21, vcc
	v_add_f32_e32 v19, v19, v13
	v_bfe_u32 v20, v19, 16, 1
	v_add3_u32 v20, v19, v20, s33
	v_lshrrev_b32_e32 v20, 16, v20
	v_cmp_o_f32_e32 vcc, v19, v19
	v_mbcnt_lo_u32_b32 v19, -1, 0
	v_mbcnt_hi_u32_b32 v19, -1, v19
	v_cndmask_b32_e32 v20, v23, v20, vcc
	v_and_b32_e32 v22, 15, v19
	v_and_b32_e32 v21, 0xffff, v20
	v_cmp_ne_u32_e32 vcc, 0, v22
	s_nop 0
	v_mov_b32_dpp v24, v21 row_shr:1 row_mask:0xf bank_mask:0xf
	s_and_saveexec_b64 s[30:31], vcc
; %bb.29:
	v_lshlrev_b32_e32 v20, 16, v24
	v_lshlrev_b32_e32 v21, 16, v21
	v_add_f32_e32 v20, v21, v20
	v_bfe_u32 v21, v20, 16, 1
	v_add3_u32 v21, v20, v21, s33
	v_cmp_o_f32_e32 vcc, v20, v20
	s_nop 1
	v_cndmask_b32_sdwa v20, v23, v21, vcc dst_sel:DWORD dst_unused:UNUSED_PAD src0_sel:DWORD src1_sel:WORD_1
	v_and_b32_e32 v21, 0xffff, v20
; %bb.30:
	s_or_b64 exec, exec, s[30:31]
	s_nop 0
	v_mov_b32_dpp v23, v21 row_shr:2 row_mask:0xf bank_mask:0xf
	v_cmp_lt_u32_e32 vcc, 1, v22
	s_and_saveexec_b64 s[30:31], vcc
; %bb.31:
	v_lshlrev_b32_e32 v20, 16, v21
	v_lshlrev_b32_e32 v21, 16, v23
	v_add_f32_e32 v20, v21, v20
	v_bfe_u32 v21, v20, 16, 1
	v_add3_u32 v21, v20, v21, s33
	v_cmp_o_f32_e32 vcc, v20, v20
	v_mov_b32_e32 v20, 0x7fc0
	s_nop 0
	v_cndmask_b32_sdwa v20, v20, v21, vcc dst_sel:DWORD dst_unused:UNUSED_PAD src0_sel:DWORD src1_sel:WORD_1
	v_and_b32_e32 v21, 0xffff, v20
; %bb.32:
	s_or_b64 exec, exec, s[30:31]
	s_nop 0
	v_mov_b32_dpp v23, v21 row_shr:4 row_mask:0xf bank_mask:0xf
	v_cmp_lt_u32_e32 vcc, 3, v22
	s_and_saveexec_b64 s[30:31], vcc
; %bb.33:
	v_lshlrev_b32_e32 v20, 16, v21
	v_lshlrev_b32_e32 v21, 16, v23
	v_add_f32_e32 v20, v21, v20
	v_bfe_u32 v21, v20, 16, 1
	v_add3_u32 v21, v20, v21, s33
	v_cmp_o_f32_e32 vcc, v20, v20
	v_mov_b32_e32 v20, 0x7fc0
	;; [unrolled: 17-line block ×3, first 2 shown]
	s_nop 0
	v_cndmask_b32_sdwa v20, v20, v21, vcc dst_sel:DWORD dst_unused:UNUSED_PAD src0_sel:DWORD src1_sel:WORD_1
	v_and_b32_e32 v21, 0xffff, v20
; %bb.36:
	s_or_b64 exec, exec, s[30:31]
	v_and_b32_e32 v23, 16, v19
	v_mov_b32_dpp v22, v21 row_bcast:15 row_mask:0xf bank_mask:0xf
	v_cmp_ne_u32_e32 vcc, 0, v23
	s_and_saveexec_b64 s[30:31], vcc
; %bb.37:
	v_lshlrev_b32_e32 v20, 16, v21
	v_lshlrev_b32_e32 v21, 16, v22
	v_add_f32_e32 v20, v21, v20
	v_bfe_u32 v21, v20, 16, 1
	v_add3_u32 v21, v20, v21, s33
	v_cmp_o_f32_e32 vcc, v20, v20
	v_mov_b32_e32 v20, 0x7fc0
	s_nop 0
	v_cndmask_b32_sdwa v20, v20, v21, vcc dst_sel:DWORD dst_unused:UNUSED_PAD src0_sel:DWORD src1_sel:WORD_1
	v_and_b32_e32 v21, 0xffff, v20
; %bb.38:
	s_or_b64 exec, exec, s[30:31]
	s_nop 0
	v_mov_b32_dpp v22, v21 row_bcast:31 row_mask:0xf bank_mask:0xf
	v_cmp_lt_u32_e32 vcc, 31, v19
	s_and_saveexec_b64 s[30:31], vcc
; %bb.39:
	v_lshlrev_b32_e32 v20, 16, v21
	v_lshlrev_b32_e32 v21, 16, v22
	v_add_f32_e32 v20, v21, v20
	v_bfe_u32 v21, v20, 16, 1
	v_add3_u32 v21, v20, v21, s33
	v_cmp_o_f32_e32 vcc, v20, v20
	v_mov_b32_e32 v20, 0x7fc0
	s_nop 0
	v_cndmask_b32_sdwa v20, v20, v21, vcc dst_sel:DWORD dst_unused:UNUSED_PAD src0_sel:DWORD src1_sel:WORD_1
; %bb.40:
	s_or_b64 exec, exec, s[30:31]
	v_or_b32_e32 v21, 63, v0
	v_lshrrev_b32_e32 v22, 6, v0
	v_cmp_eq_u32_e32 vcc, v0, v21
	s_and_saveexec_b64 s[30:31], vcc
; %bb.41:
	v_lshlrev_b32_e32 v21, 1, v22
	ds_write_b16 v21, v20
; %bb.42:
	s_or_b64 exec, exec, s[30:31]
	v_cmp_gt_u32_e32 vcc, 2, v0
	s_waitcnt lgkmcnt(0)
	s_barrier
	s_and_saveexec_b64 s[30:31], vcc
	s_cbranch_execz .LBB117_46
; %bb.43:
	ds_read_u16 v21, v2
	v_and_b32_e32 v25, 1, v19
	v_cmp_eq_u32_e32 vcc, 1, v25
	s_waitcnt lgkmcnt(0)
	v_and_b32_e32 v23, 0xffff, v21
	s_nop 1
	v_mov_b32_dpp v24, v23 row_shr:1 row_mask:0xf bank_mask:0xf
	s_and_saveexec_b64 s[34:35], vcc
; %bb.44:
	v_lshlrev_b32_e32 v21, 16, v23
	v_lshlrev_b32_e32 v23, 16, v24
	v_add_f32_e32 v21, v23, v21
	v_bfe_u32 v23, v21, 16, 1
	v_add3_u32 v23, v21, v23, s33
	v_cmp_o_f32_e32 vcc, v21, v21
	v_mov_b32_e32 v21, 0x7fc0
	s_nop 0
	v_cndmask_b32_sdwa v21, v21, v23, vcc dst_sel:DWORD dst_unused:UNUSED_PAD src0_sel:DWORD src1_sel:WORD_1
; %bb.45:
	s_or_b64 exec, exec, s[34:35]
	ds_write_b16 v2, v21
.LBB117_46:
	s_or_b64 exec, exec, s[30:31]
	v_mul_u32_u24_e32 v21, 26, v0
	v_cmp_lt_u32_e32 vcc, 63, v0
	s_waitcnt lgkmcnt(0)
	s_barrier
                                        ; implicit-def: $vgpr23
	s_and_saveexec_b64 s[30:31], vcc
	s_cbranch_execz .LBB117_48
; %bb.47:
	v_lshl_add_u32 v22, v22, 1, -2
	ds_read_u16 v23, v22
	v_lshlrev_b32_e32 v20, 16, v20
	v_mov_b32_e32 v22, 0x7fc0
	s_waitcnt lgkmcnt(0)
	v_lshlrev_b32_e32 v24, 16, v23
	v_add_f32_e32 v20, v24, v20
	v_bfe_u32 v24, v20, 16, 1
	v_cmp_o_f32_e32 vcc, v20, v20
	v_add3_u32 v20, v20, v24, s33
	s_nop 0
	v_cndmask_b32_sdwa v20, v22, v20, vcc dst_sel:DWORD dst_unused:UNUSED_PAD src0_sel:DWORD src1_sel:WORD_1
.LBB117_48:
	s_or_b64 exec, exec, s[30:31]
	v_add_u32_e32 v22, -1, v19
	v_and_b32_e32 v24, 64, v19
	v_cmp_lt_i32_e32 vcc, v22, v24
	v_and_b32_e32 v20, 0xffff, v20
	s_nop 0
	v_cndmask_b32_e32 v22, v22, v19, vcc
	v_lshlrev_b32_e32 v22, 2, v22
	ds_bpermute_b32 v20, v22, v20
	v_cmp_ne_u32_e32 vcc, 0, v0
	s_and_saveexec_b64 s[30:31], vcc
	s_cbranch_execz .LBB117_50
; %bb.49:
	v_cmp_eq_u32_e32 vcc, 0, v19
	s_waitcnt lgkmcnt(0)
	s_nop 0
	v_cndmask_b32_sdwa v0, v20, v23, vcc dst_sel:WORD_1 dst_unused:UNUSED_PAD src0_sel:DWORD src1_sel:DWORD
	s_nop 0
	v_add_f32_e32 v0, v18, v0
	v_bfe_u32 v4, v0, 16, 1
	v_add3_u32 v4, v0, v4, s33
	v_cmp_o_f32_e32 vcc, v0, v0
	v_mov_b32_e32 v0, 0x7fc0
	s_nop 0
	v_cndmask_b32_sdwa v4, v0, v4, vcc dst_sel:DWORD dst_unused:UNUSED_PAD src0_sel:DWORD src1_sel:WORD_1
	v_lshlrev_b32_e32 v0, 16, v4
	v_add_f32_e32 v16, v15, v0
	v_bfe_u32 v0, v16, 16, 1
	v_add3_u32 v17, v16, v0, s33
.LBB117_50:
	s_or_b64 exec, exec, s[30:31]
	v_cmp_o_f32_e32 vcc, v16, v16
	v_mov_b32_e32 v0, 0x7fc0
	s_movk_i32 s30, 0x7fff
	v_cndmask_b32_sdwa v15, v0, v17, vcc dst_sel:DWORD dst_unused:UNUSED_PAD src0_sel:DWORD src1_sel:WORD_1
	v_lshlrev_b32_e32 v16, 16, v15
	v_add_f32_e32 v14, v14, v16
	v_bfe_u32 v16, v14, 16, 1
	v_add3_u32 v16, v14, v16, s30
	v_lshrrev_b32_e32 v16, 16, v16
	v_cmp_o_f32_e32 vcc, v14, v14
	s_waitcnt lgkmcnt(0)
	s_barrier
	v_cndmask_b32_e32 v14, v0, v16, vcc
	v_lshlrev_b32_e32 v16, 16, v14
	v_add_f32_e32 v1, v1, v16
	v_bfe_u32 v16, v1, 16, 1
	v_add3_u32 v16, v1, v16, s30
	v_lshrrev_b32_e32 v16, 16, v16
	v_cmp_o_f32_e32 vcc, v1, v1
	s_load_dwordx2 s[0:1], s[0:1], 0x18
	s_nop 0
	v_cndmask_b32_e32 v1, v0, v16, vcc
	v_lshlrev_b32_e32 v16, 16, v1
	v_add_f32_e32 v3, v3, v16
	v_bfe_u32 v16, v3, 16, 1
	v_add3_u32 v16, v3, v16, s30
	v_lshrrev_b32_e32 v16, 16, v16
	v_cmp_o_f32_e32 vcc, v3, v3
	s_nop 1
	v_cndmask_b32_e32 v3, v0, v16, vcc
	v_lshlrev_b32_e32 v16, 16, v3
	v_add_f32_e32 v5, v5, v16
	v_bfe_u32 v16, v5, 16, 1
	v_add3_u32 v16, v5, v16, s30
	v_lshrrev_b32_e32 v16, 16, v16
	v_cmp_o_f32_e32 vcc, v5, v5
	;; [unrolled: 8-line block ×9, first 2 shown]
	s_nop 1
	v_cndmask_b32_e32 v12, v0, v16, vcc
	v_lshlrev_b32_e32 v16, 16, v12
	v_add_f32_e32 v13, v13, v16
	v_bfe_u32 v16, v13, 16, 1
	v_add3_u32 v16, v13, v16, s30
	s_mov_b32 s30, 0x5040100
	v_lshrrev_b32_e32 v16, 16, v16
	v_cmp_o_f32_e32 vcc, v13, v13
	v_add_u32_e32 v13, v2, v21
	v_perm_b32 v1, v1, v14, s30
	v_perm_b32 v4, v15, v4, s30
	v_cndmask_b32_e32 v0, v0, v16, vcc
	ds_write2_b32 v13, v4, v1 offset1:1
	v_perm_b32 v1, v7, v6, s30
	v_perm_b32 v3, v5, v3, s30
	ds_write2_b32 v13, v3, v1 offset0:2 offset1:3
	v_perm_b32 v1, v11, v10, s30
	v_perm_b32 v3, v9, v8, s30
	;; [unrolled: 1-line block ×3, first 2 shown]
	ds_write2_b32 v13, v3, v1 offset0:4 offset1:5
	ds_write_b32 v13, v0 offset:24
	s_waitcnt lgkmcnt(0)
	s_barrier
	ds_read_u16 v16, v2 offset:256
	ds_read_u16 v15, v2 offset:512
	;; [unrolled: 1-line block ×13, first 2 shown]
	v_mov_b32_e32 v3, 0
	v_lshl_add_u64 v[0:1], s[0:1], 0, v[2:3]
	s_and_saveexec_b64 s[0:1], s[28:29]
	s_cbranch_execnz .LBB117_65
; %bb.51:
	s_or_b64 exec, exec, s[0:1]
	s_and_saveexec_b64 s[0:1], s[2:3]
	s_cbranch_execnz .LBB117_66
.LBB117_52:
	s_or_b64 exec, exec, s[0:1]
	s_and_saveexec_b64 s[0:1], s[4:5]
	s_cbranch_execnz .LBB117_67
.LBB117_53:
	s_or_b64 exec, exec, s[0:1]
	s_and_saveexec_b64 s[0:1], s[6:7]
	s_cbranch_execnz .LBB117_68
.LBB117_54:
	s_or_b64 exec, exec, s[0:1]
	s_and_saveexec_b64 s[0:1], s[8:9]
	s_cbranch_execnz .LBB117_69
.LBB117_55:
	s_or_b64 exec, exec, s[0:1]
	s_and_saveexec_b64 s[0:1], s[10:11]
	s_cbranch_execnz .LBB117_70
.LBB117_56:
	s_or_b64 exec, exec, s[0:1]
	s_and_saveexec_b64 s[0:1], s[12:13]
	s_cbranch_execnz .LBB117_71
.LBB117_57:
	s_or_b64 exec, exec, s[0:1]
	s_and_saveexec_b64 s[0:1], s[14:15]
	s_cbranch_execnz .LBB117_72
.LBB117_58:
	s_or_b64 exec, exec, s[0:1]
	s_and_saveexec_b64 s[0:1], s[16:17]
	s_cbranch_execnz .LBB117_73
.LBB117_59:
	s_or_b64 exec, exec, s[0:1]
	s_and_saveexec_b64 s[0:1], s[18:19]
	s_cbranch_execnz .LBB117_74
.LBB117_60:
	s_or_b64 exec, exec, s[0:1]
	s_and_saveexec_b64 s[0:1], s[20:21]
	s_cbranch_execnz .LBB117_75
.LBB117_61:
	s_or_b64 exec, exec, s[0:1]
	s_and_saveexec_b64 s[0:1], s[22:23]
	s_cbranch_execnz .LBB117_76
.LBB117_62:
	s_or_b64 exec, exec, s[0:1]
	s_and_saveexec_b64 s[0:1], s[24:25]
	s_cbranch_execnz .LBB117_77
.LBB117_63:
	s_or_b64 exec, exec, s[0:1]
	s_and_saveexec_b64 s[0:1], s[26:27]
	s_cbranch_execnz .LBB117_78
.LBB117_64:
	s_endpgm
.LBB117_65:
	ds_read_u16 v2, v2
	s_waitcnt lgkmcnt(0)
	global_store_short v[0:1], v2, off
	s_or_b64 exec, exec, s[0:1]
	s_and_saveexec_b64 s[0:1], s[2:3]
	s_cbranch_execz .LBB117_52
.LBB117_66:
	s_waitcnt lgkmcnt(12)
	global_store_short v[0:1], v16, off offset:256
	s_or_b64 exec, exec, s[0:1]
	s_and_saveexec_b64 s[0:1], s[4:5]
	s_cbranch_execz .LBB117_53
.LBB117_67:
	s_waitcnt lgkmcnt(11)
	global_store_short v[0:1], v15, off offset:512
	s_or_b64 exec, exec, s[0:1]
	s_and_saveexec_b64 s[0:1], s[6:7]
	s_cbranch_execz .LBB117_54
.LBB117_68:
	s_waitcnt lgkmcnt(10)
	global_store_short v[0:1], v14, off offset:768
	s_or_b64 exec, exec, s[0:1]
	s_and_saveexec_b64 s[0:1], s[8:9]
	s_cbranch_execz .LBB117_55
.LBB117_69:
	s_waitcnt lgkmcnt(9)
	global_store_short v[0:1], v13, off offset:1024
	s_or_b64 exec, exec, s[0:1]
	s_and_saveexec_b64 s[0:1], s[10:11]
	s_cbranch_execz .LBB117_56
.LBB117_70:
	s_waitcnt lgkmcnt(8)
	global_store_short v[0:1], v12, off offset:1280
	s_or_b64 exec, exec, s[0:1]
	s_and_saveexec_b64 s[0:1], s[12:13]
	s_cbranch_execz .LBB117_57
.LBB117_71:
	s_waitcnt lgkmcnt(7)
	global_store_short v[0:1], v11, off offset:1536
	s_or_b64 exec, exec, s[0:1]
	s_and_saveexec_b64 s[0:1], s[14:15]
	s_cbranch_execz .LBB117_58
.LBB117_72:
	s_waitcnt lgkmcnt(6)
	global_store_short v[0:1], v10, off offset:1792
	s_or_b64 exec, exec, s[0:1]
	s_and_saveexec_b64 s[0:1], s[16:17]
	s_cbranch_execz .LBB117_59
.LBB117_73:
	s_waitcnt lgkmcnt(5)
	global_store_short v[0:1], v9, off offset:2048
	s_or_b64 exec, exec, s[0:1]
	s_and_saveexec_b64 s[0:1], s[18:19]
	s_cbranch_execz .LBB117_60
.LBB117_74:
	s_waitcnt lgkmcnt(4)
	global_store_short v[0:1], v8, off offset:2304
	s_or_b64 exec, exec, s[0:1]
	s_and_saveexec_b64 s[0:1], s[20:21]
	s_cbranch_execz .LBB117_61
.LBB117_75:
	s_waitcnt lgkmcnt(3)
	global_store_short v[0:1], v7, off offset:2560
	s_or_b64 exec, exec, s[0:1]
	s_and_saveexec_b64 s[0:1], s[22:23]
	s_cbranch_execz .LBB117_62
.LBB117_76:
	s_waitcnt lgkmcnt(2)
	global_store_short v[0:1], v6, off offset:2816
	s_or_b64 exec, exec, s[0:1]
	s_and_saveexec_b64 s[0:1], s[24:25]
	s_cbranch_execz .LBB117_63
.LBB117_77:
	s_waitcnt lgkmcnt(1)
	global_store_short v[0:1], v5, off offset:3072
	s_or_b64 exec, exec, s[0:1]
	s_and_saveexec_b64 s[0:1], s[26:27]
	s_cbranch_execz .LBB117_64
.LBB117_78:
	s_waitcnt lgkmcnt(0)
	global_store_short v[0:1], v4, off offset:3328
	s_endpgm
	.section	.rodata,"a",@progbits
	.p2align	6, 0x0
	.amdhsa_kernel _ZN7rocprim17ROCPRIM_304000_NS6detail18single_scan_kernelILb0ENS1_19wrapped_scan_configINS0_14default_configEN3c108BFloat16EEEPKS6_PS6_St4plusIS6_ES6_S6_EEvT1_mT4_T2_T3_
		.amdhsa_group_segment_fixed_size 3584
		.amdhsa_private_segment_fixed_size 0
		.amdhsa_kernarg_size 36
		.amdhsa_user_sgpr_count 2
		.amdhsa_user_sgpr_dispatch_ptr 0
		.amdhsa_user_sgpr_queue_ptr 0
		.amdhsa_user_sgpr_kernarg_segment_ptr 1
		.amdhsa_user_sgpr_dispatch_id 0
		.amdhsa_user_sgpr_kernarg_preload_length 0
		.amdhsa_user_sgpr_kernarg_preload_offset 0
		.amdhsa_user_sgpr_private_segment_size 0
		.amdhsa_uses_dynamic_stack 0
		.amdhsa_enable_private_segment 0
		.amdhsa_system_sgpr_workgroup_id_x 1
		.amdhsa_system_sgpr_workgroup_id_y 0
		.amdhsa_system_sgpr_workgroup_id_z 0
		.amdhsa_system_sgpr_workgroup_info 0
		.amdhsa_system_vgpr_workitem_id 0
		.amdhsa_next_free_vgpr 26
		.amdhsa_next_free_sgpr 36
		.amdhsa_accum_offset 28
		.amdhsa_reserve_vcc 1
		.amdhsa_float_round_mode_32 0
		.amdhsa_float_round_mode_16_64 0
		.amdhsa_float_denorm_mode_32 3
		.amdhsa_float_denorm_mode_16_64 3
		.amdhsa_dx10_clamp 1
		.amdhsa_ieee_mode 1
		.amdhsa_fp16_overflow 0
		.amdhsa_tg_split 0
		.amdhsa_exception_fp_ieee_invalid_op 0
		.amdhsa_exception_fp_denorm_src 0
		.amdhsa_exception_fp_ieee_div_zero 0
		.amdhsa_exception_fp_ieee_overflow 0
		.amdhsa_exception_fp_ieee_underflow 0
		.amdhsa_exception_fp_ieee_inexact 0
		.amdhsa_exception_int_div_zero 0
	.end_amdhsa_kernel
	.section	.text._ZN7rocprim17ROCPRIM_304000_NS6detail18single_scan_kernelILb0ENS1_19wrapped_scan_configINS0_14default_configEN3c108BFloat16EEEPKS6_PS6_St4plusIS6_ES6_S6_EEvT1_mT4_T2_T3_,"axG",@progbits,_ZN7rocprim17ROCPRIM_304000_NS6detail18single_scan_kernelILb0ENS1_19wrapped_scan_configINS0_14default_configEN3c108BFloat16EEEPKS6_PS6_St4plusIS6_ES6_S6_EEvT1_mT4_T2_T3_,comdat
.Lfunc_end117:
	.size	_ZN7rocprim17ROCPRIM_304000_NS6detail18single_scan_kernelILb0ENS1_19wrapped_scan_configINS0_14default_configEN3c108BFloat16EEEPKS6_PS6_St4plusIS6_ES6_S6_EEvT1_mT4_T2_T3_, .Lfunc_end117-_ZN7rocprim17ROCPRIM_304000_NS6detail18single_scan_kernelILb0ENS1_19wrapped_scan_configINS0_14default_configEN3c108BFloat16EEEPKS6_PS6_St4plusIS6_ES6_S6_EEvT1_mT4_T2_T3_
                                        ; -- End function
	.set _ZN7rocprim17ROCPRIM_304000_NS6detail18single_scan_kernelILb0ENS1_19wrapped_scan_configINS0_14default_configEN3c108BFloat16EEEPKS6_PS6_St4plusIS6_ES6_S6_EEvT1_mT4_T2_T3_.num_vgpr, 26
	.set _ZN7rocprim17ROCPRIM_304000_NS6detail18single_scan_kernelILb0ENS1_19wrapped_scan_configINS0_14default_configEN3c108BFloat16EEEPKS6_PS6_St4plusIS6_ES6_S6_EEvT1_mT4_T2_T3_.num_agpr, 0
	.set _ZN7rocprim17ROCPRIM_304000_NS6detail18single_scan_kernelILb0ENS1_19wrapped_scan_configINS0_14default_configEN3c108BFloat16EEEPKS6_PS6_St4plusIS6_ES6_S6_EEvT1_mT4_T2_T3_.numbered_sgpr, 36
	.set _ZN7rocprim17ROCPRIM_304000_NS6detail18single_scan_kernelILb0ENS1_19wrapped_scan_configINS0_14default_configEN3c108BFloat16EEEPKS6_PS6_St4plusIS6_ES6_S6_EEvT1_mT4_T2_T3_.num_named_barrier, 0
	.set _ZN7rocprim17ROCPRIM_304000_NS6detail18single_scan_kernelILb0ENS1_19wrapped_scan_configINS0_14default_configEN3c108BFloat16EEEPKS6_PS6_St4plusIS6_ES6_S6_EEvT1_mT4_T2_T3_.private_seg_size, 0
	.set _ZN7rocprim17ROCPRIM_304000_NS6detail18single_scan_kernelILb0ENS1_19wrapped_scan_configINS0_14default_configEN3c108BFloat16EEEPKS6_PS6_St4plusIS6_ES6_S6_EEvT1_mT4_T2_T3_.uses_vcc, 1
	.set _ZN7rocprim17ROCPRIM_304000_NS6detail18single_scan_kernelILb0ENS1_19wrapped_scan_configINS0_14default_configEN3c108BFloat16EEEPKS6_PS6_St4plusIS6_ES6_S6_EEvT1_mT4_T2_T3_.uses_flat_scratch, 0
	.set _ZN7rocprim17ROCPRIM_304000_NS6detail18single_scan_kernelILb0ENS1_19wrapped_scan_configINS0_14default_configEN3c108BFloat16EEEPKS6_PS6_St4plusIS6_ES6_S6_EEvT1_mT4_T2_T3_.has_dyn_sized_stack, 0
	.set _ZN7rocprim17ROCPRIM_304000_NS6detail18single_scan_kernelILb0ENS1_19wrapped_scan_configINS0_14default_configEN3c108BFloat16EEEPKS6_PS6_St4plusIS6_ES6_S6_EEvT1_mT4_T2_T3_.has_recursion, 0
	.set _ZN7rocprim17ROCPRIM_304000_NS6detail18single_scan_kernelILb0ENS1_19wrapped_scan_configINS0_14default_configEN3c108BFloat16EEEPKS6_PS6_St4plusIS6_ES6_S6_EEvT1_mT4_T2_T3_.has_indirect_call, 0
	.section	.AMDGPU.csdata,"",@progbits
; Kernel info:
; codeLenInByte = 3524
; TotalNumSgprs: 42
; NumVgprs: 26
; NumAgprs: 0
; TotalNumVgprs: 26
; ScratchSize: 0
; MemoryBound: 0
; FloatMode: 240
; IeeeMode: 1
; LDSByteSize: 3584 bytes/workgroup (compile time only)
; SGPRBlocks: 5
; VGPRBlocks: 3
; NumSGPRsForWavesPerEU: 42
; NumVGPRsForWavesPerEU: 26
; AccumOffset: 28
; Occupancy: 8
; WaveLimiterHint : 0
; COMPUTE_PGM_RSRC2:SCRATCH_EN: 0
; COMPUTE_PGM_RSRC2:USER_SGPR: 2
; COMPUTE_PGM_RSRC2:TRAP_HANDLER: 0
; COMPUTE_PGM_RSRC2:TGID_X_EN: 1
; COMPUTE_PGM_RSRC2:TGID_Y_EN: 0
; COMPUTE_PGM_RSRC2:TGID_Z_EN: 0
; COMPUTE_PGM_RSRC2:TIDIG_COMP_CNT: 0
; COMPUTE_PGM_RSRC3_GFX90A:ACCUM_OFFSET: 6
; COMPUTE_PGM_RSRC3_GFX90A:TG_SPLIT: 0
	.section	.text._ZN2at6native32tensor_kernel_scan_innermost_dimIN3c108BFloat16ESt4plusIS3_EEEvPT_PKS6_jjjS6_T0_,"axG",@progbits,_ZN2at6native32tensor_kernel_scan_innermost_dimIN3c108BFloat16ESt4plusIS3_EEEvPT_PKS6_jjjS6_T0_,comdat
	.protected	_ZN2at6native32tensor_kernel_scan_innermost_dimIN3c108BFloat16ESt4plusIS3_EEEvPT_PKS6_jjjS6_T0_ ; -- Begin function _ZN2at6native32tensor_kernel_scan_innermost_dimIN3c108BFloat16ESt4plusIS3_EEEvPT_PKS6_jjjS6_T0_
	.globl	_ZN2at6native32tensor_kernel_scan_innermost_dimIN3c108BFloat16ESt4plusIS3_EEEvPT_PKS6_jjjS6_T0_
	.p2align	8
	.type	_ZN2at6native32tensor_kernel_scan_innermost_dimIN3c108BFloat16ESt4plusIS3_EEEvPT_PKS6_jjjS6_T0_,@function
_ZN2at6native32tensor_kernel_scan_innermost_dimIN3c108BFloat16ESt4plusIS3_EEEvPT_PKS6_jjjS6_T0_: ; @_ZN2at6native32tensor_kernel_scan_innermost_dimIN3c108BFloat16ESt4plusIS3_EEEvPT_PKS6_jjjS6_T0_
; %bb.0:
	s_load_dwordx8 s[12:19], s[0:1], 0x0
	v_bfe_u32 v2, v0, 10, 10
	s_waitcnt lgkmcnt(0)
	s_lshl_b32 s3, 2, s18
	s_mul_hi_u32 s4, s16, s17
	v_mul_lo_u32 v1, s3, v2
	v_lshl_add_u32 v18, v1, 1, 0
	s_cmp_lg_u32 s4, 0
	s_mov_b64 s[4:5], -1
	s_cbranch_scc1 .LBB118_26
; %bb.1:
	s_load_dword s6, s[0:1], 0x2c
	s_add_u32 s4, s0, 32
	s_addc_u32 s5, s1, 0
	s_waitcnt lgkmcnt(0)
	s_lshr_b32 s6, s6, 16
	s_mul_i32 s24, s2, s6
	s_cmp_ge_u32 s24, s16
	s_cbranch_scc1 .LBB118_25
; %bb.2:
	s_load_dword s26, s[4:5], 0x0
	s_lshl_b32 s25, 1, s18
	s_cmp_lg_u32 s17, 0
	s_cselect_b64 s[8:9], -1, 0
	v_and_b32_e32 v1, 0x3ff, v0
	v_lshl_add_u32 v3, v1, 1, v18
	s_lshl_b32 s4, s3, 1
	v_cndmask_b32_e64 v4, 0, 1, s[8:9]
	v_lshl_add_u32 v12, s25, 1, v3
	v_cmp_eq_u32_e64 s[10:11], 0, v1
	v_add3_u32 v13, v18, s4, -2
	s_waitcnt lgkmcnt(0)
	s_mul_i32 s26, s26, s6
	s_add_i32 s27, s18, 1
	v_cmp_ne_u32_e64 s[4:5], 1, v4
	v_mov_b32_e32 v5, 0
	s_movk_i32 s28, 0x7fff
	v_mov_b32_e32 v14, 0x7fc0
	s_branch .LBB118_4
.LBB118_3:                              ;   in Loop: Header=BB118_4 Depth=1
	s_add_i32 s24, s24, s26
	s_cmp_ge_u32 s24, s16
	s_cbranch_scc1 .LBB118_25
.LBB118_4:                              ; =>This Loop Header: Depth=1
                                        ;     Child Loop BB118_7 Depth 2
                                        ;       Child Loop BB118_16 Depth 3
	s_and_b64 vcc, exec, s[4:5]
	s_cbranch_vccnz .LBB118_3
; %bb.5:                                ;   in Loop: Header=BB118_4 Depth=1
	v_add_u32_e32 v10, s24, v2
	v_mul_lo_u32 v4, v10, s17
	v_lshlrev_b64 v[8:9], 1, v[4:5]
	v_lshl_add_u64 v[6:7], s[14:15], 0, v[8:9]
	v_lshl_add_u64 v[8:9], s[12:13], 0, v[8:9]
	v_cmp_gt_u32_e64 s[6:7], s16, v10
	v_cmp_le_u32_e64 s[8:9], s16, v10
	s_mov_b32 s29, 0
	v_mov_b32_e32 v15, s19
	s_branch .LBB118_7
.LBB118_6:                              ;   in Loop: Header=BB118_7 Depth=2
	s_or_b64 exec, exec, s[20:21]
	ds_read_u16 v15, v13
	s_add_i32 s29, s29, s3
	s_cmp_ge_u32 s29, s17
	s_waitcnt lgkmcnt(0)
	s_barrier
	s_cbranch_scc1 .LBB118_3
.LBB118_7:                              ;   Parent Loop BB118_4 Depth=1
                                        ; =>  This Loop Header: Depth=2
                                        ;       Child Loop BB118_16 Depth 3
	v_add_u32_e32 v4, s29, v1
	v_add_u32_e32 v10, s25, v4
	s_and_saveexec_b64 s[20:21], s[6:7]
	s_cbranch_execz .LBB118_14
; %bb.8:                                ;   in Loop: Header=BB118_7 Depth=2
	v_cmp_gt_u32_e32 vcc, s17, v4
	v_mov_b32_e32 v11, s19
	s_and_saveexec_b64 s[22:23], vcc
	s_cbranch_execz .LBB118_10
; %bb.9:                                ;   in Loop: Header=BB118_7 Depth=2
	v_lshl_add_u64 v[16:17], v[4:5], 1, v[6:7]
	global_load_ushort v11, v[16:17], off
.LBB118_10:                             ;   in Loop: Header=BB118_7 Depth=2
	s_or_b64 exec, exec, s[22:23]
	s_waitcnt vmcnt(0)
	ds_write_b16 v3, v11
	v_cmp_gt_u32_e32 vcc, s17, v10
	v_mov_b32_e32 v11, s19
	s_and_saveexec_b64 s[22:23], vcc
	s_cbranch_execz .LBB118_12
; %bb.11:                               ;   in Loop: Header=BB118_7 Depth=2
	v_mov_b32_e32 v11, v5
	v_lshl_add_u64 v[16:17], v[10:11], 1, v[6:7]
	global_load_ushort v11, v[16:17], off
.LBB118_12:                             ;   in Loop: Header=BB118_7 Depth=2
	s_or_b64 exec, exec, s[22:23]
	s_waitcnt vmcnt(0)
	ds_write_b16 v12, v11
	s_and_b64 exec, exec, s[10:11]
	s_cbranch_execz .LBB118_14
; %bb.13:                               ;   in Loop: Header=BB118_7 Depth=2
	ds_read_u16 v11, v18
	v_lshlrev_b32_e32 v15, 16, v15
	s_waitcnt lgkmcnt(0)
	v_lshlrev_b32_e32 v11, 16, v11
	v_add_f32_e32 v11, v11, v15
	v_bfe_u32 v15, v11, 16, 1
	v_cmp_o_f32_e32 vcc, v11, v11
	v_add3_u32 v11, v11, v15, s28
	s_nop 0
	v_cndmask_b32_sdwa v11, v14, v11, vcc dst_sel:DWORD dst_unused:UNUSED_PAD src0_sel:DWORD src1_sel:WORD_1
	ds_write_b16 v18, v11
.LBB118_14:                             ;   in Loop: Header=BB118_7 Depth=2
	s_or_b64 exec, exec, s[20:21]
	v_mov_b32_e32 v11, 0
	s_mov_b64 s[20:21], 0
	s_waitcnt lgkmcnt(0)
	s_barrier
	s_branch .LBB118_16
.LBB118_15:                             ;   in Loop: Header=BB118_16 Depth=3
	s_or_b64 exec, exec, s[22:23]
	v_cmp_eq_u32_e32 vcc, s27, v11
	s_or_b64 s[20:21], vcc, s[20:21]
	s_waitcnt lgkmcnt(0)
	s_barrier
	s_andn2_b64 exec, exec, s[20:21]
	s_cbranch_execz .LBB118_20
.LBB118_16:                             ;   Parent Loop BB118_4 Depth=1
                                        ;     Parent Loop BB118_7 Depth=2
                                        ; =>    This Inner Loop Header: Depth=3
	v_add_u32_e32 v15, 1, v11
	s_and_saveexec_b64 s[22:23], s[8:9]
	s_xor_b64 s[22:23], exec, s[22:23]
; %bb.17:                               ;   in Loop: Header=BB118_16 Depth=3
	v_add_u32_e32 v11, 1, v11
                                        ; implicit-def: $vgpr15
; %bb.18:                               ;   in Loop: Header=BB118_16 Depth=3
	s_andn2_saveexec_b64 s[22:23], s[22:23]
	s_cbranch_execz .LBB118_15
; %bb.19:                               ;   in Loop: Header=BB118_16 Depth=3
	v_lshlrev_b32_e64 v16, v11, 1
	v_lshrrev_b32_e32 v17, v11, v1
	v_lshl_or_b32 v16, v17, v15, v16
	v_bfm_b32 v11, v11, 0
	v_and_b32_e32 v11, v11, v1
	v_lshl_add_u32 v16, v16, 1, v18
	v_lshl_add_u32 v11, v11, 1, v16
	v_add_u32_e32 v16, -2, v16
	ds_read_u16 v17, v11
	ds_read_u16 v16, v16
	s_waitcnt lgkmcnt(1)
	v_lshlrev_b32_e32 v17, 16, v17
	s_waitcnt lgkmcnt(0)
	v_lshlrev_b32_e32 v16, 16, v16
	v_add_f32_e32 v16, v16, v17
	v_bfe_u32 v17, v16, 16, 1
	v_add3_u32 v17, v16, v17, s28
	v_cmp_o_f32_e32 vcc, v16, v16
	s_nop 1
	v_cndmask_b32_sdwa v16, v14, v17, vcc dst_sel:DWORD dst_unused:UNUSED_PAD src0_sel:DWORD src1_sel:WORD_1
	ds_write_b16 v11, v16
	v_mov_b32_e32 v11, v15
	s_branch .LBB118_15
.LBB118_20:                             ;   in Loop: Header=BB118_7 Depth=2
	s_or_b64 exec, exec, s[20:21]
	s_and_saveexec_b64 s[20:21], s[6:7]
	s_cbranch_execz .LBB118_6
; %bb.21:                               ;   in Loop: Header=BB118_7 Depth=2
	v_cmp_gt_u32_e32 vcc, s17, v4
	s_and_saveexec_b64 s[22:23], vcc
	s_cbranch_execz .LBB118_23
; %bb.22:                               ;   in Loop: Header=BB118_7 Depth=2
	ds_read_u16 v11, v3
	v_lshl_add_u64 v[16:17], v[4:5], 1, v[8:9]
	s_waitcnt lgkmcnt(0)
	global_store_short v[16:17], v11, off
.LBB118_23:                             ;   in Loop: Header=BB118_7 Depth=2
	s_or_b64 exec, exec, s[22:23]
	v_cmp_gt_u32_e32 vcc, s17, v10
	s_and_b64 exec, exec, vcc
	s_cbranch_execz .LBB118_6
; %bb.24:                               ;   in Loop: Header=BB118_7 Depth=2
	ds_read_u16 v4, v12
	v_mov_b32_e32 v11, v5
	v_lshl_add_u64 v[10:11], v[10:11], 1, v[8:9]
	s_waitcnt lgkmcnt(0)
	global_store_short v[10:11], v4, off
	s_branch .LBB118_6
.LBB118_25:
	s_mov_b64 s[4:5], 0
.LBB118_26:
	s_andn2_b64 vcc, exec, s[4:5]
	s_cbranch_vccnz .LBB118_53
; %bb.27:
	s_load_dword s3, s[0:1], 0x2c
	s_add_u32 s0, s0, 32
	s_mov_b32 s9, 0
	s_addc_u32 s1, s1, 0
	s_mov_b32 s8, s16
	s_waitcnt lgkmcnt(0)
	s_lshr_b32 s3, s3, 16
	s_mul_hi_u32 s11, s3, s2
	s_mul_i32 s10, s3, s2
	v_mov_b64_e32 v[4:5], s[8:9]
	v_cmp_ge_u64_e32 vcc, s[10:11], v[4:5]
	s_cbranch_vccnz .LBB118_53
; %bb.28:
	s_lshl_b32 s20, 1, s18
	s_load_dword s5, s[0:1], 0x0
	s_and_b32 s4, 0xffff, s3
	s_ashr_i32 s21, s20, 31
	s_cmp_lg_u32 s17, 0
	s_mov_b32 s22, s17
	s_cselect_b64 s[2:3], -1, 0
	v_and_b32_e32 v0, 0x3ff, v0
	s_lshl_b64 s[16:17], s[20:21], 1
	v_mov_b32_e32 v3, 0
	v_lshl_add_u32 v19, v0, 1, v18
	s_lshl_b32 s6, s16, 1
	v_cndmask_b32_e64 v4, 0, 1, s[2:3]
	s_mov_b32 s23, s9
	v_mov_b32_e32 v1, v3
	v_lshl_add_u32 v20, s20, 1, v19
	v_cmp_eq_u32_e64 s[0:1], 0, v0
	v_add3_u32 v21, v18, s6, -2
	s_waitcnt lgkmcnt(0)
	s_mul_i32 s33, s5, s4
	s_add_i32 s18, s18, 1
	v_cmp_ne_u32_e64 s[2:3], 1, v4
	s_movk_i32 s34, 0x7fff
	v_mov_b64_e32 v[4:5], s[8:9]
	v_mov_b32_e32 v22, 0x7fc0
	s_branch .LBB118_30
.LBB118_29:                             ;   in Loop: Header=BB118_30 Depth=1
	s_add_u32 s10, s10, s33
	s_addc_u32 s11, s11, 0
	v_cmp_ge_u64_e32 vcc, s[10:11], v[4:5]
	s_cbranch_vccnz .LBB118_53
.LBB118_30:                             ; =>This Loop Header: Depth=1
                                        ;     Child Loop BB118_33 Depth 2
                                        ;       Child Loop BB118_43 Depth 3
	s_and_b64 vcc, exec, s[2:3]
	s_cbranch_vccnz .LBB118_29
; %bb.31:                               ;   in Loop: Header=BB118_30 Depth=1
	v_lshl_add_u64 v[10:11], s[10:11], 0, v[2:3]
	v_mad_u64_u32 v[6:7], s[4:5], v10, s22, 0
	v_mov_b32_e32 v8, v7
	v_mad_u64_u32 v[8:9], s[4:5], v11, s22, v[8:9]
	v_mov_b32_e32 v7, v8
	v_lshlrev_b64 v[8:9], 1, v[6:7]
	v_lshl_add_u64 v[6:7], s[14:15], 0, v[8:9]
	v_lshl_add_u64 v[8:9], s[12:13], 0, v[8:9]
	v_cmp_gt_u64_e64 s[4:5], s[8:9], v[10:11]
	v_cmp_le_u64_e64 s[6:7], s[8:9], v[10:11]
	s_mov_b64 s[24:25], 0
	v_mov_b32_e32 v14, s19
	s_branch .LBB118_33
.LBB118_32:                             ;   in Loop: Header=BB118_33 Depth=2
	s_or_b64 exec, exec, s[26:27]
	ds_read_u16 v14, v21
	s_add_u32 s24, s24, s16
	s_addc_u32 s25, s25, s17
	v_mov_b64_e32 v[10:11], s[22:23]
	v_cmp_ge_u64_e32 vcc, s[24:25], v[10:11]
	s_waitcnt lgkmcnt(0)
	s_barrier
	s_cbranch_vccnz .LBB118_29
.LBB118_33:                             ;   Parent Loop BB118_30 Depth=1
                                        ; =>  This Loop Header: Depth=2
                                        ;       Child Loop BB118_43 Depth 3
	v_lshl_add_u64 v[12:13], s[24:25], 0, v[0:1]
	v_lshl_add_u64 v[10:11], v[12:13], 0, s[20:21]
	s_and_saveexec_b64 s[26:27], s[4:5]
	s_cbranch_execz .LBB118_40
; %bb.34:                               ;   in Loop: Header=BB118_33 Depth=2
	v_cmp_gt_u64_e32 vcc, s[22:23], v[12:13]
	v_mov_b32_e32 v15, s19
	s_and_saveexec_b64 s[28:29], vcc
	s_cbranch_execz .LBB118_36
; %bb.35:                               ;   in Loop: Header=BB118_33 Depth=2
	v_lshl_add_u64 v[16:17], v[12:13], 1, v[6:7]
	global_load_ushort v15, v[16:17], off
.LBB118_36:                             ;   in Loop: Header=BB118_33 Depth=2
	s_or_b64 exec, exec, s[28:29]
	s_waitcnt vmcnt(0)
	ds_write_b16 v19, v15
	v_cmp_gt_u64_e32 vcc, s[22:23], v[10:11]
	v_mov_b32_e32 v15, s19
	s_and_saveexec_b64 s[28:29], vcc
	s_cbranch_execz .LBB118_38
; %bb.37:                               ;   in Loop: Header=BB118_33 Depth=2
	v_lshl_add_u64 v[16:17], v[10:11], 1, v[6:7]
	global_load_ushort v15, v[16:17], off
.LBB118_38:                             ;   in Loop: Header=BB118_33 Depth=2
	s_or_b64 exec, exec, s[28:29]
	s_waitcnt vmcnt(0)
	ds_write_b16 v20, v15
	s_and_b64 exec, exec, s[0:1]
	s_cbranch_execz .LBB118_40
; %bb.39:                               ;   in Loop: Header=BB118_33 Depth=2
	ds_read_u16 v15, v18
	v_lshlrev_b32_e32 v14, 16, v14
	s_waitcnt lgkmcnt(0)
	v_lshlrev_b32_e32 v15, 16, v15
	v_add_f32_e32 v14, v15, v14
	v_bfe_u32 v15, v14, 16, 1
	v_cmp_o_f32_e32 vcc, v14, v14
	v_add3_u32 v14, v14, v15, s34
	s_nop 0
	v_cndmask_b32_sdwa v14, v22, v14, vcc dst_sel:DWORD dst_unused:UNUSED_PAD src0_sel:DWORD src1_sel:WORD_1
	ds_write_b16 v18, v14
.LBB118_40:                             ;   in Loop: Header=BB118_33 Depth=2
	s_or_b64 exec, exec, s[26:27]
	v_mov_b32_e32 v24, 0
	s_mov_b64 s[26:27], 0
	s_waitcnt lgkmcnt(0)
	s_barrier
	s_branch .LBB118_43
.LBB118_41:                             ;   in Loop: Header=BB118_43 Depth=3
	s_or_b64 exec, exec, s[30:31]
	v_lshrrev_b32_e32 v15, v24, v0
	v_lshl_or_b32 v14, v15, v23, v14
	v_lshl_add_u32 v14, v14, 1, v18
	v_lshl_add_u32 v15, v16, 1, v14
	v_add_u32_e32 v14, -2, v14
	ds_read_u16 v16, v15
	ds_read_u16 v14, v14
	s_waitcnt lgkmcnt(1)
	v_lshlrev_b32_e32 v16, 16, v16
	s_waitcnt lgkmcnt(0)
	v_lshlrev_b32_e32 v14, 16, v14
	v_add_f32_e32 v14, v14, v16
	v_bfe_u32 v16, v14, 16, 1
	v_cmp_o_f32_e32 vcc, v14, v14
	v_add3_u32 v14, v14, v16, s34
	s_nop 0
	v_cndmask_b32_sdwa v14, v22, v14, vcc dst_sel:DWORD dst_unused:UNUSED_PAD src0_sel:DWORD src1_sel:WORD_1
	ds_write_b16 v15, v14
.LBB118_42:                             ;   in Loop: Header=BB118_43 Depth=3
	s_or_b64 exec, exec, s[28:29]
	v_cmp_eq_u32_e32 vcc, s18, v23
	s_or_b64 s[26:27], vcc, s[26:27]
	v_mov_b32_e32 v24, v23
	s_waitcnt lgkmcnt(0)
	s_barrier
	s_andn2_b64 exec, exec, s[26:27]
	s_cbranch_execz .LBB118_48
.LBB118_43:                             ;   Parent Loop BB118_30 Depth=1
                                        ;     Parent Loop BB118_33 Depth=2
                                        ; =>    This Inner Loop Header: Depth=3
	v_add_u32_e32 v23, 1, v24
	s_and_saveexec_b64 s[28:29], s[6:7]
	s_xor_b64 s[28:29], exec, s[28:29]
; %bb.44:                               ;   in Loop: Header=BB118_43 Depth=3
	v_add_u32_e32 v23, 1, v24
                                        ; implicit-def: $vgpr24
; %bb.45:                               ;   in Loop: Header=BB118_43 Depth=3
	s_andn2_saveexec_b64 s[28:29], s[28:29]
	s_cbranch_execz .LBB118_42
; %bb.46:                               ;   in Loop: Header=BB118_43 Depth=3
	v_lshlrev_b32_e64 v14, v24, 1
	v_ashrrev_i32_e32 v15, 31, v14
	v_cmp_ge_u64_e32 vcc, v[0:1], v[14:15]
	v_mov_b64_e32 v[16:17], v[0:1]
	s_and_saveexec_b64 s[30:31], vcc
	s_cbranch_execz .LBB118_41
; %bb.47:                               ;   in Loop: Header=BB118_43 Depth=3
	v_cvt_f32_u32_e32 v15, v14
	v_sub_u32_e32 v16, 0, v14
	v_rcp_iflag_f32_e32 v15, v15
	s_nop 0
	v_mul_f32_e32 v15, 0x4f7ffffe, v15
	v_cvt_u32_f32_e32 v15, v15
	v_mul_lo_u32 v16, v16, v15
	v_mul_hi_u32 v16, v15, v16
	v_add_u32_e32 v15, v15, v16
	v_mul_hi_u32 v15, v0, v15
	v_mul_lo_u32 v15, v15, v14
	v_sub_u32_e32 v15, v0, v15
	v_sub_u32_e32 v16, v15, v14
	v_cmp_ge_u32_e32 vcc, v15, v14
	s_nop 1
	v_cndmask_b32_e32 v15, v15, v16, vcc
	v_sub_u32_e32 v16, v15, v14
	v_cmp_ge_u32_e32 vcc, v15, v14
	s_nop 1
	v_cndmask_b32_e32 v16, v15, v16, vcc
	s_branch .LBB118_41
.LBB118_48:                             ;   in Loop: Header=BB118_33 Depth=2
	s_or_b64 exec, exec, s[26:27]
	s_and_saveexec_b64 s[26:27], s[4:5]
	s_cbranch_execz .LBB118_32
; %bb.49:                               ;   in Loop: Header=BB118_33 Depth=2
	v_cmp_gt_u64_e32 vcc, s[22:23], v[12:13]
	s_and_saveexec_b64 s[28:29], vcc
	s_cbranch_execz .LBB118_51
; %bb.50:                               ;   in Loop: Header=BB118_33 Depth=2
	ds_read_u16 v14, v19
	v_lshl_add_u64 v[12:13], v[12:13], 1, v[8:9]
	s_waitcnt lgkmcnt(0)
	global_store_short v[12:13], v14, off
.LBB118_51:                             ;   in Loop: Header=BB118_33 Depth=2
	s_or_b64 exec, exec, s[28:29]
	v_cmp_gt_u64_e32 vcc, s[22:23], v[10:11]
	s_and_b64 exec, exec, vcc
	s_cbranch_execz .LBB118_32
; %bb.52:                               ;   in Loop: Header=BB118_33 Depth=2
	ds_read_u16 v12, v20
	v_lshl_add_u64 v[10:11], v[10:11], 1, v[8:9]
	s_waitcnt lgkmcnt(0)
	global_store_short v[10:11], v12, off
	s_branch .LBB118_32
.LBB118_53:
	s_endpgm
	.section	.rodata,"a",@progbits
	.p2align	6, 0x0
	.amdhsa_kernel _ZN2at6native32tensor_kernel_scan_innermost_dimIN3c108BFloat16ESt4plusIS3_EEEvPT_PKS6_jjjS6_T0_
		.amdhsa_group_segment_fixed_size 0
		.amdhsa_private_segment_fixed_size 0
		.amdhsa_kernarg_size 288
		.amdhsa_user_sgpr_count 2
		.amdhsa_user_sgpr_dispatch_ptr 0
		.amdhsa_user_sgpr_queue_ptr 0
		.amdhsa_user_sgpr_kernarg_segment_ptr 1
		.amdhsa_user_sgpr_dispatch_id 0
		.amdhsa_user_sgpr_kernarg_preload_length 0
		.amdhsa_user_sgpr_kernarg_preload_offset 0
		.amdhsa_user_sgpr_private_segment_size 0
		.amdhsa_uses_dynamic_stack 0
		.amdhsa_enable_private_segment 0
		.amdhsa_system_sgpr_workgroup_id_x 1
		.amdhsa_system_sgpr_workgroup_id_y 0
		.amdhsa_system_sgpr_workgroup_id_z 0
		.amdhsa_system_sgpr_workgroup_info 0
		.amdhsa_system_vgpr_workitem_id 1
		.amdhsa_next_free_vgpr 25
		.amdhsa_next_free_sgpr 35
		.amdhsa_accum_offset 28
		.amdhsa_reserve_vcc 1
		.amdhsa_float_round_mode_32 0
		.amdhsa_float_round_mode_16_64 0
		.amdhsa_float_denorm_mode_32 3
		.amdhsa_float_denorm_mode_16_64 3
		.amdhsa_dx10_clamp 1
		.amdhsa_ieee_mode 1
		.amdhsa_fp16_overflow 0
		.amdhsa_tg_split 0
		.amdhsa_exception_fp_ieee_invalid_op 0
		.amdhsa_exception_fp_denorm_src 0
		.amdhsa_exception_fp_ieee_div_zero 0
		.amdhsa_exception_fp_ieee_overflow 0
		.amdhsa_exception_fp_ieee_underflow 0
		.amdhsa_exception_fp_ieee_inexact 0
		.amdhsa_exception_int_div_zero 0
	.end_amdhsa_kernel
	.section	.text._ZN2at6native32tensor_kernel_scan_innermost_dimIN3c108BFloat16ESt4plusIS3_EEEvPT_PKS6_jjjS6_T0_,"axG",@progbits,_ZN2at6native32tensor_kernel_scan_innermost_dimIN3c108BFloat16ESt4plusIS3_EEEvPT_PKS6_jjjS6_T0_,comdat
.Lfunc_end118:
	.size	_ZN2at6native32tensor_kernel_scan_innermost_dimIN3c108BFloat16ESt4plusIS3_EEEvPT_PKS6_jjjS6_T0_, .Lfunc_end118-_ZN2at6native32tensor_kernel_scan_innermost_dimIN3c108BFloat16ESt4plusIS3_EEEvPT_PKS6_jjjS6_T0_
                                        ; -- End function
	.set _ZN2at6native32tensor_kernel_scan_innermost_dimIN3c108BFloat16ESt4plusIS3_EEEvPT_PKS6_jjjS6_T0_.num_vgpr, 25
	.set _ZN2at6native32tensor_kernel_scan_innermost_dimIN3c108BFloat16ESt4plusIS3_EEEvPT_PKS6_jjjS6_T0_.num_agpr, 0
	.set _ZN2at6native32tensor_kernel_scan_innermost_dimIN3c108BFloat16ESt4plusIS3_EEEvPT_PKS6_jjjS6_T0_.numbered_sgpr, 35
	.set _ZN2at6native32tensor_kernel_scan_innermost_dimIN3c108BFloat16ESt4plusIS3_EEEvPT_PKS6_jjjS6_T0_.num_named_barrier, 0
	.set _ZN2at6native32tensor_kernel_scan_innermost_dimIN3c108BFloat16ESt4plusIS3_EEEvPT_PKS6_jjjS6_T0_.private_seg_size, 0
	.set _ZN2at6native32tensor_kernel_scan_innermost_dimIN3c108BFloat16ESt4plusIS3_EEEvPT_PKS6_jjjS6_T0_.uses_vcc, 1
	.set _ZN2at6native32tensor_kernel_scan_innermost_dimIN3c108BFloat16ESt4plusIS3_EEEvPT_PKS6_jjjS6_T0_.uses_flat_scratch, 0
	.set _ZN2at6native32tensor_kernel_scan_innermost_dimIN3c108BFloat16ESt4plusIS3_EEEvPT_PKS6_jjjS6_T0_.has_dyn_sized_stack, 0
	.set _ZN2at6native32tensor_kernel_scan_innermost_dimIN3c108BFloat16ESt4plusIS3_EEEvPT_PKS6_jjjS6_T0_.has_recursion, 0
	.set _ZN2at6native32tensor_kernel_scan_innermost_dimIN3c108BFloat16ESt4plusIS3_EEEvPT_PKS6_jjjS6_T0_.has_indirect_call, 0
	.section	.AMDGPU.csdata,"",@progbits
; Kernel info:
; codeLenInByte = 1800
; TotalNumSgprs: 41
; NumVgprs: 25
; NumAgprs: 0
; TotalNumVgprs: 25
; ScratchSize: 0
; MemoryBound: 0
; FloatMode: 240
; IeeeMode: 1
; LDSByteSize: 0 bytes/workgroup (compile time only)
; SGPRBlocks: 5
; VGPRBlocks: 3
; NumSGPRsForWavesPerEU: 41
; NumVGPRsForWavesPerEU: 25
; AccumOffset: 28
; Occupancy: 8
; WaveLimiterHint : 0
; COMPUTE_PGM_RSRC2:SCRATCH_EN: 0
; COMPUTE_PGM_RSRC2:USER_SGPR: 2
; COMPUTE_PGM_RSRC2:TRAP_HANDLER: 0
; COMPUTE_PGM_RSRC2:TGID_X_EN: 1
; COMPUTE_PGM_RSRC2:TGID_Y_EN: 0
; COMPUTE_PGM_RSRC2:TGID_Z_EN: 0
; COMPUTE_PGM_RSRC2:TIDIG_COMP_CNT: 1
; COMPUTE_PGM_RSRC3_GFX90A:ACCUM_OFFSET: 6
; COMPUTE_PGM_RSRC3_GFX90A:TG_SPLIT: 0
	.section	.text._ZN2at6native28tensor_kernel_scan_outer_dimIN3c108BFloat16EjSt4plusIS3_EEEvPT_PKS6_jjjS6_T1_,"axG",@progbits,_ZN2at6native28tensor_kernel_scan_outer_dimIN3c108BFloat16EjSt4plusIS3_EEEvPT_PKS6_jjjS6_T1_,comdat
	.protected	_ZN2at6native28tensor_kernel_scan_outer_dimIN3c108BFloat16EjSt4plusIS3_EEEvPT_PKS6_jjjS6_T1_ ; -- Begin function _ZN2at6native28tensor_kernel_scan_outer_dimIN3c108BFloat16EjSt4plusIS3_EEEvPT_PKS6_jjjS6_T1_
	.globl	_ZN2at6native28tensor_kernel_scan_outer_dimIN3c108BFloat16EjSt4plusIS3_EEEvPT_PKS6_jjjS6_T1_
	.p2align	8
	.type	_ZN2at6native28tensor_kernel_scan_outer_dimIN3c108BFloat16EjSt4plusIS3_EEEvPT_PKS6_jjjS6_T1_,@function
_ZN2at6native28tensor_kernel_scan_outer_dimIN3c108BFloat16EjSt4plusIS3_EEEvPT_PKS6_jjjS6_T1_: ; @_ZN2at6native28tensor_kernel_scan_outer_dimIN3c108BFloat16EjSt4plusIS3_EEEvPT_PKS6_jjjS6_T1_
; %bb.0:
	s_load_dwordx4 s[8:11], s[0:1], 0x10
	s_waitcnt lgkmcnt(0)
	s_cmp_ge_u32 s2, s8
	s_cbranch_scc1 .LBB119_9
; %bb.1:
	s_load_dword s4, s[0:1], 0x2c
	s_load_dwordx4 s[12:15], s[0:1], 0x0
	s_load_dword s26, s[0:1], 0x20
	s_add_u32 s6, s0, 32
	s_addc_u32 s7, s1, 0
	s_waitcnt lgkmcnt(0)
	s_and_b32 s27, s4, 0xffff
	s_mul_i32 s3, s3, s27
	s_cmp_lg_u32 s10, 0
	v_add_u32_e32 v4, s3, v0
	s_cselect_b64 s[4:5], -1, 0
	s_mul_i32 s3, s2, s10
	s_mov_b32 s17, 0
	s_mov_b32 s16, s9
	s_mul_i32 s20, s3, s9
	s_mul_i32 s3, s26, s10
	v_cndmask_b32_e64 v0, 0, 1, s[4:5]
	v_cmp_gt_u32_e64 s[0:1], s9, v4
	s_mul_i32 s3, s3, s9
	s_lshl_b64 s[18:19], s[16:17], 1
	v_cmp_ne_u32_e64 s[4:5], 1, v0
	v_mov_b32_e32 v1, 0
	s_movk_i32 s28, 0x7fff
	v_mov_b32_e32 v5, 0x7fc0
	s_mov_b32 s16, s20
	s_branch .LBB119_3
.LBB119_2:                              ;   in Loop: Header=BB119_3 Depth=1
	s_or_b64 exec, exec, s[20:21]
	s_add_i32 s2, s26, s2
	s_add_i32 s16, s16, s3
	s_cmp_ge_u32 s2, s8
	s_cbranch_scc1 .LBB119_9
.LBB119_3:                              ; =>This Loop Header: Depth=1
                                        ;     Child Loop BB119_6 Depth 2
                                        ;       Child Loop BB119_8 Depth 3
	s_and_saveexec_b64 s[20:21], s[0:1]
	s_cbranch_execz .LBB119_2
; %bb.4:                                ;   in Loop: Header=BB119_3 Depth=1
	s_load_dword s29, s[6:7], 0x4
	s_lshl_b64 s[22:23], s[16:17], 1
	s_mov_b64 s[24:25], 0
	v_mov_b32_e32 v0, v4
	s_waitcnt lgkmcnt(0)
	s_mul_i32 s29, s29, s27
	s_branch .LBB119_6
.LBB119_5:                              ;   in Loop: Header=BB119_6 Depth=2
	v_add_u32_e32 v0, s29, v0
	v_cmp_le_u32_e32 vcc, s9, v0
	s_or_b64 s[24:25], vcc, s[24:25]
	s_andn2_b64 exec, exec, s[24:25]
	s_cbranch_execz .LBB119_2
.LBB119_6:                              ;   Parent Loop BB119_3 Depth=1
                                        ; =>  This Loop Header: Depth=2
                                        ;       Child Loop BB119_8 Depth 3
	s_and_b64 vcc, exec, s[4:5]
	s_cbranch_vccnz .LBB119_5
; %bb.7:                                ;   in Loop: Header=BB119_6 Depth=2
	v_lshl_add_u64 v[2:3], v[0:1], 1, s[22:23]
	v_mov_b32_e32 v6, s11
	s_mov_b32 s30, s10
.LBB119_8:                              ;   Parent Loop BB119_3 Depth=1
                                        ;     Parent Loop BB119_6 Depth=2
                                        ; =>    This Inner Loop Header: Depth=3
	v_lshl_add_u64 v[8:9], s[14:15], 0, v[2:3]
	global_load_ushort v7, v[8:9], off
	v_lshlrev_b32_e32 v6, 16, v6
	s_add_i32 s30, s30, -1
	v_lshl_add_u64 v[8:9], s[12:13], 0, v[2:3]
	v_lshl_add_u64 v[2:3], v[2:3], 0, s[18:19]
	s_cmp_eq_u32 s30, 0
	s_waitcnt vmcnt(0)
	v_lshlrev_b32_e32 v7, 16, v7
	v_add_f32_e32 v6, v7, v6
	v_bfe_u32 v7, v6, 16, 1
	v_cmp_o_f32_e32 vcc, v6, v6
	v_add3_u32 v6, v6, v7, s28
	s_nop 0
	v_cndmask_b32_sdwa v6, v5, v6, vcc dst_sel:DWORD dst_unused:UNUSED_PAD src0_sel:DWORD src1_sel:WORD_1
	global_store_short v[8:9], v6, off
	s_cbranch_scc0 .LBB119_8
	s_branch .LBB119_5
.LBB119_9:
	s_endpgm
	.section	.rodata,"a",@progbits
	.p2align	6, 0x0
	.amdhsa_kernel _ZN2at6native28tensor_kernel_scan_outer_dimIN3c108BFloat16EjSt4plusIS3_EEEvPT_PKS6_jjjS6_T1_
		.amdhsa_group_segment_fixed_size 0
		.amdhsa_private_segment_fixed_size 0
		.amdhsa_kernarg_size 288
		.amdhsa_user_sgpr_count 2
		.amdhsa_user_sgpr_dispatch_ptr 0
		.amdhsa_user_sgpr_queue_ptr 0
		.amdhsa_user_sgpr_kernarg_segment_ptr 1
		.amdhsa_user_sgpr_dispatch_id 0
		.amdhsa_user_sgpr_kernarg_preload_length 0
		.amdhsa_user_sgpr_kernarg_preload_offset 0
		.amdhsa_user_sgpr_private_segment_size 0
		.amdhsa_uses_dynamic_stack 0
		.amdhsa_enable_private_segment 0
		.amdhsa_system_sgpr_workgroup_id_x 1
		.amdhsa_system_sgpr_workgroup_id_y 1
		.amdhsa_system_sgpr_workgroup_id_z 0
		.amdhsa_system_sgpr_workgroup_info 0
		.amdhsa_system_vgpr_workitem_id 0
		.amdhsa_next_free_vgpr 10
		.amdhsa_next_free_sgpr 31
		.amdhsa_accum_offset 12
		.amdhsa_reserve_vcc 1
		.amdhsa_float_round_mode_32 0
		.amdhsa_float_round_mode_16_64 0
		.amdhsa_float_denorm_mode_32 3
		.amdhsa_float_denorm_mode_16_64 3
		.amdhsa_dx10_clamp 1
		.amdhsa_ieee_mode 1
		.amdhsa_fp16_overflow 0
		.amdhsa_tg_split 0
		.amdhsa_exception_fp_ieee_invalid_op 0
		.amdhsa_exception_fp_denorm_src 0
		.amdhsa_exception_fp_ieee_div_zero 0
		.amdhsa_exception_fp_ieee_overflow 0
		.amdhsa_exception_fp_ieee_underflow 0
		.amdhsa_exception_fp_ieee_inexact 0
		.amdhsa_exception_int_div_zero 0
	.end_amdhsa_kernel
	.section	.text._ZN2at6native28tensor_kernel_scan_outer_dimIN3c108BFloat16EjSt4plusIS3_EEEvPT_PKS6_jjjS6_T1_,"axG",@progbits,_ZN2at6native28tensor_kernel_scan_outer_dimIN3c108BFloat16EjSt4plusIS3_EEEvPT_PKS6_jjjS6_T1_,comdat
.Lfunc_end119:
	.size	_ZN2at6native28tensor_kernel_scan_outer_dimIN3c108BFloat16EjSt4plusIS3_EEEvPT_PKS6_jjjS6_T1_, .Lfunc_end119-_ZN2at6native28tensor_kernel_scan_outer_dimIN3c108BFloat16EjSt4plusIS3_EEEvPT_PKS6_jjjS6_T1_
                                        ; -- End function
	.set _ZN2at6native28tensor_kernel_scan_outer_dimIN3c108BFloat16EjSt4plusIS3_EEEvPT_PKS6_jjjS6_T1_.num_vgpr, 10
	.set _ZN2at6native28tensor_kernel_scan_outer_dimIN3c108BFloat16EjSt4plusIS3_EEEvPT_PKS6_jjjS6_T1_.num_agpr, 0
	.set _ZN2at6native28tensor_kernel_scan_outer_dimIN3c108BFloat16EjSt4plusIS3_EEEvPT_PKS6_jjjS6_T1_.numbered_sgpr, 31
	.set _ZN2at6native28tensor_kernel_scan_outer_dimIN3c108BFloat16EjSt4plusIS3_EEEvPT_PKS6_jjjS6_T1_.num_named_barrier, 0
	.set _ZN2at6native28tensor_kernel_scan_outer_dimIN3c108BFloat16EjSt4plusIS3_EEEvPT_PKS6_jjjS6_T1_.private_seg_size, 0
	.set _ZN2at6native28tensor_kernel_scan_outer_dimIN3c108BFloat16EjSt4plusIS3_EEEvPT_PKS6_jjjS6_T1_.uses_vcc, 1
	.set _ZN2at6native28tensor_kernel_scan_outer_dimIN3c108BFloat16EjSt4plusIS3_EEEvPT_PKS6_jjjS6_T1_.uses_flat_scratch, 0
	.set _ZN2at6native28tensor_kernel_scan_outer_dimIN3c108BFloat16EjSt4plusIS3_EEEvPT_PKS6_jjjS6_T1_.has_dyn_sized_stack, 0
	.set _ZN2at6native28tensor_kernel_scan_outer_dimIN3c108BFloat16EjSt4plusIS3_EEEvPT_PKS6_jjjS6_T1_.has_recursion, 0
	.set _ZN2at6native28tensor_kernel_scan_outer_dimIN3c108BFloat16EjSt4plusIS3_EEEvPT_PKS6_jjjS6_T1_.has_indirect_call, 0
	.section	.AMDGPU.csdata,"",@progbits
; Kernel info:
; codeLenInByte = 368
; TotalNumSgprs: 37
; NumVgprs: 10
; NumAgprs: 0
; TotalNumVgprs: 10
; ScratchSize: 0
; MemoryBound: 0
; FloatMode: 240
; IeeeMode: 1
; LDSByteSize: 0 bytes/workgroup (compile time only)
; SGPRBlocks: 4
; VGPRBlocks: 1
; NumSGPRsForWavesPerEU: 37
; NumVGPRsForWavesPerEU: 10
; AccumOffset: 12
; Occupancy: 8
; WaveLimiterHint : 0
; COMPUTE_PGM_RSRC2:SCRATCH_EN: 0
; COMPUTE_PGM_RSRC2:USER_SGPR: 2
; COMPUTE_PGM_RSRC2:TRAP_HANDLER: 0
; COMPUTE_PGM_RSRC2:TGID_X_EN: 1
; COMPUTE_PGM_RSRC2:TGID_Y_EN: 1
; COMPUTE_PGM_RSRC2:TGID_Z_EN: 0
; COMPUTE_PGM_RSRC2:TIDIG_COMP_CNT: 0
; COMPUTE_PGM_RSRC3_GFX90A:ACCUM_OFFSET: 2
; COMPUTE_PGM_RSRC3_GFX90A:TG_SPLIT: 0
	.section	.text._ZN2at6native28tensor_kernel_scan_outer_dimIN3c108BFloat16EmSt4plusIS3_EEEvPT_PKS6_jjjS6_T1_,"axG",@progbits,_ZN2at6native28tensor_kernel_scan_outer_dimIN3c108BFloat16EmSt4plusIS3_EEEvPT_PKS6_jjjS6_T1_,comdat
	.protected	_ZN2at6native28tensor_kernel_scan_outer_dimIN3c108BFloat16EmSt4plusIS3_EEEvPT_PKS6_jjjS6_T1_ ; -- Begin function _ZN2at6native28tensor_kernel_scan_outer_dimIN3c108BFloat16EmSt4plusIS3_EEEvPT_PKS6_jjjS6_T1_
	.globl	_ZN2at6native28tensor_kernel_scan_outer_dimIN3c108BFloat16EmSt4plusIS3_EEEvPT_PKS6_jjjS6_T1_
	.p2align	8
	.type	_ZN2at6native28tensor_kernel_scan_outer_dimIN3c108BFloat16EmSt4plusIS3_EEEvPT_PKS6_jjjS6_T1_,@function
_ZN2at6native28tensor_kernel_scan_outer_dimIN3c108BFloat16EmSt4plusIS3_EEEvPT_PKS6_jjjS6_T1_: ; @_ZN2at6native28tensor_kernel_scan_outer_dimIN3c108BFloat16EmSt4plusIS3_EEEvPT_PKS6_jjjS6_T1_
; %bb.0:
	s_load_dwordx4 s[8:11], s[0:1], 0x10
	s_waitcnt lgkmcnt(0)
	s_cmp_ge_u32 s2, s8
	s_cbranch_scc1 .LBB120_9
; %bb.1:
	s_load_dword s4, s[0:1], 0x2c
	s_load_dwordx4 s[12:15], s[0:1], 0x0
	s_load_dword s26, s[0:1], 0x20
	s_add_u32 s6, s0, 32
	s_addc_u32 s7, s1, 0
	s_waitcnt lgkmcnt(0)
	s_and_b32 s27, s4, 0xffff
	s_cmp_lg_u32 s10, 0
	s_mul_i32 s3, s3, s27
	s_cselect_b64 s[20:21], -1, 0
	v_add_u32_e32 v4, s3, v0
	s_mov_b32 s5, 0
	s_mov_b32 s4, s9
	s_mul_hi_u32 s17, s10, s9
	s_mul_i32 s16, s10, s9
	v_cndmask_b32_e64 v0, 0, 1, s[20:21]
	v_cmp_gt_u32_e64 s[0:1], s9, v4
	s_lshl_b64 s[16:17], s[16:17], 1
	s_lshl_b64 s[18:19], s[4:5], 1
	v_cmp_ne_u32_e64 s[4:5], 1, v0
	v_mov_b32_e32 v1, 0
	s_movk_i32 s3, 0x7fff
	v_mov_b32_e32 v5, 0x7fc0
	s_branch .LBB120_3
.LBB120_2:                              ;   in Loop: Header=BB120_3 Depth=1
	s_or_b64 exec, exec, s[20:21]
	s_add_i32 s2, s2, s26
	s_cmp_ge_u32 s2, s8
	s_cbranch_scc1 .LBB120_9
.LBB120_3:                              ; =>This Loop Header: Depth=1
                                        ;     Child Loop BB120_6 Depth 2
                                        ;       Child Loop BB120_8 Depth 3
	s_and_saveexec_b64 s[20:21], s[0:1]
	s_cbranch_execz .LBB120_2
; %bb.4:                                ;   in Loop: Header=BB120_3 Depth=1
	s_load_dword s28, s[6:7], 0x4
	s_mul_i32 s23, s17, s2
	s_mul_hi_u32 s24, s16, s2
	s_mul_i32 s22, s16, s2
	s_add_i32 s23, s24, s23
	s_waitcnt lgkmcnt(0)
	s_mul_i32 s28, s28, s27
	s_mov_b64 s[24:25], 0
	v_mov_b32_e32 v0, v4
	s_branch .LBB120_6
.LBB120_5:                              ;   in Loop: Header=BB120_6 Depth=2
	v_add_u32_e32 v0, s28, v0
	v_cmp_le_u32_e32 vcc, s9, v0
	s_or_b64 s[24:25], vcc, s[24:25]
	s_andn2_b64 exec, exec, s[24:25]
	s_cbranch_execz .LBB120_2
.LBB120_6:                              ;   Parent Loop BB120_3 Depth=1
                                        ; =>  This Loop Header: Depth=2
                                        ;       Child Loop BB120_8 Depth 3
	s_and_b64 vcc, exec, s[4:5]
	s_cbranch_vccnz .LBB120_5
; %bb.7:                                ;   in Loop: Header=BB120_6 Depth=2
	v_lshl_add_u64 v[2:3], v[0:1], 1, s[22:23]
	v_mov_b32_e32 v6, s11
	s_mov_b32 s29, s10
.LBB120_8:                              ;   Parent Loop BB120_3 Depth=1
                                        ;     Parent Loop BB120_6 Depth=2
                                        ; =>    This Inner Loop Header: Depth=3
	v_lshl_add_u64 v[8:9], s[14:15], 0, v[2:3]
	global_load_ushort v7, v[8:9], off
	v_lshlrev_b32_e32 v6, 16, v6
	s_add_i32 s29, s29, -1
	v_lshl_add_u64 v[8:9], s[12:13], 0, v[2:3]
	v_lshl_add_u64 v[2:3], v[2:3], 0, s[18:19]
	s_cmp_eq_u32 s29, 0
	s_waitcnt vmcnt(0)
	v_lshlrev_b32_e32 v7, 16, v7
	v_add_f32_e32 v6, v7, v6
	v_bfe_u32 v7, v6, 16, 1
	v_cmp_o_f32_e32 vcc, v6, v6
	v_add3_u32 v6, v6, v7, s3
	s_nop 0
	v_cndmask_b32_sdwa v6, v5, v6, vcc dst_sel:DWORD dst_unused:UNUSED_PAD src0_sel:DWORD src1_sel:WORD_1
	global_store_short v[8:9], v6, off
	s_cbranch_scc0 .LBB120_8
	s_branch .LBB120_5
.LBB120_9:
	s_endpgm
	.section	.rodata,"a",@progbits
	.p2align	6, 0x0
	.amdhsa_kernel _ZN2at6native28tensor_kernel_scan_outer_dimIN3c108BFloat16EmSt4plusIS3_EEEvPT_PKS6_jjjS6_T1_
		.amdhsa_group_segment_fixed_size 0
		.amdhsa_private_segment_fixed_size 0
		.amdhsa_kernarg_size 288
		.amdhsa_user_sgpr_count 2
		.amdhsa_user_sgpr_dispatch_ptr 0
		.amdhsa_user_sgpr_queue_ptr 0
		.amdhsa_user_sgpr_kernarg_segment_ptr 1
		.amdhsa_user_sgpr_dispatch_id 0
		.amdhsa_user_sgpr_kernarg_preload_length 0
		.amdhsa_user_sgpr_kernarg_preload_offset 0
		.amdhsa_user_sgpr_private_segment_size 0
		.amdhsa_uses_dynamic_stack 0
		.amdhsa_enable_private_segment 0
		.amdhsa_system_sgpr_workgroup_id_x 1
		.amdhsa_system_sgpr_workgroup_id_y 1
		.amdhsa_system_sgpr_workgroup_id_z 0
		.amdhsa_system_sgpr_workgroup_info 0
		.amdhsa_system_vgpr_workitem_id 0
		.amdhsa_next_free_vgpr 10
		.amdhsa_next_free_sgpr 30
		.amdhsa_accum_offset 12
		.amdhsa_reserve_vcc 1
		.amdhsa_float_round_mode_32 0
		.amdhsa_float_round_mode_16_64 0
		.amdhsa_float_denorm_mode_32 3
		.amdhsa_float_denorm_mode_16_64 3
		.amdhsa_dx10_clamp 1
		.amdhsa_ieee_mode 1
		.amdhsa_fp16_overflow 0
		.amdhsa_tg_split 0
		.amdhsa_exception_fp_ieee_invalid_op 0
		.amdhsa_exception_fp_denorm_src 0
		.amdhsa_exception_fp_ieee_div_zero 0
		.amdhsa_exception_fp_ieee_overflow 0
		.amdhsa_exception_fp_ieee_underflow 0
		.amdhsa_exception_fp_ieee_inexact 0
		.amdhsa_exception_int_div_zero 0
	.end_amdhsa_kernel
	.section	.text._ZN2at6native28tensor_kernel_scan_outer_dimIN3c108BFloat16EmSt4plusIS3_EEEvPT_PKS6_jjjS6_T1_,"axG",@progbits,_ZN2at6native28tensor_kernel_scan_outer_dimIN3c108BFloat16EmSt4plusIS3_EEEvPT_PKS6_jjjS6_T1_,comdat
.Lfunc_end120:
	.size	_ZN2at6native28tensor_kernel_scan_outer_dimIN3c108BFloat16EmSt4plusIS3_EEEvPT_PKS6_jjjS6_T1_, .Lfunc_end120-_ZN2at6native28tensor_kernel_scan_outer_dimIN3c108BFloat16EmSt4plusIS3_EEEvPT_PKS6_jjjS6_T1_
                                        ; -- End function
	.set _ZN2at6native28tensor_kernel_scan_outer_dimIN3c108BFloat16EmSt4plusIS3_EEEvPT_PKS6_jjjS6_T1_.num_vgpr, 10
	.set _ZN2at6native28tensor_kernel_scan_outer_dimIN3c108BFloat16EmSt4plusIS3_EEEvPT_PKS6_jjjS6_T1_.num_agpr, 0
	.set _ZN2at6native28tensor_kernel_scan_outer_dimIN3c108BFloat16EmSt4plusIS3_EEEvPT_PKS6_jjjS6_T1_.numbered_sgpr, 30
	.set _ZN2at6native28tensor_kernel_scan_outer_dimIN3c108BFloat16EmSt4plusIS3_EEEvPT_PKS6_jjjS6_T1_.num_named_barrier, 0
	.set _ZN2at6native28tensor_kernel_scan_outer_dimIN3c108BFloat16EmSt4plusIS3_EEEvPT_PKS6_jjjS6_T1_.private_seg_size, 0
	.set _ZN2at6native28tensor_kernel_scan_outer_dimIN3c108BFloat16EmSt4plusIS3_EEEvPT_PKS6_jjjS6_T1_.uses_vcc, 1
	.set _ZN2at6native28tensor_kernel_scan_outer_dimIN3c108BFloat16EmSt4plusIS3_EEEvPT_PKS6_jjjS6_T1_.uses_flat_scratch, 0
	.set _ZN2at6native28tensor_kernel_scan_outer_dimIN3c108BFloat16EmSt4plusIS3_EEEvPT_PKS6_jjjS6_T1_.has_dyn_sized_stack, 0
	.set _ZN2at6native28tensor_kernel_scan_outer_dimIN3c108BFloat16EmSt4plusIS3_EEEvPT_PKS6_jjjS6_T1_.has_recursion, 0
	.set _ZN2at6native28tensor_kernel_scan_outer_dimIN3c108BFloat16EmSt4plusIS3_EEEvPT_PKS6_jjjS6_T1_.has_indirect_call, 0
	.section	.AMDGPU.csdata,"",@progbits
; Kernel info:
; codeLenInByte = 368
; TotalNumSgprs: 36
; NumVgprs: 10
; NumAgprs: 0
; TotalNumVgprs: 10
; ScratchSize: 0
; MemoryBound: 0
; FloatMode: 240
; IeeeMode: 1
; LDSByteSize: 0 bytes/workgroup (compile time only)
; SGPRBlocks: 4
; VGPRBlocks: 1
; NumSGPRsForWavesPerEU: 36
; NumVGPRsForWavesPerEU: 10
; AccumOffset: 12
; Occupancy: 8
; WaveLimiterHint : 0
; COMPUTE_PGM_RSRC2:SCRATCH_EN: 0
; COMPUTE_PGM_RSRC2:USER_SGPR: 2
; COMPUTE_PGM_RSRC2:TRAP_HANDLER: 0
; COMPUTE_PGM_RSRC2:TGID_X_EN: 1
; COMPUTE_PGM_RSRC2:TGID_Y_EN: 1
; COMPUTE_PGM_RSRC2:TGID_Z_EN: 0
; COMPUTE_PGM_RSRC2:TIDIG_COMP_CNT: 0
; COMPUTE_PGM_RSRC3_GFX90A:ACCUM_OFFSET: 2
; COMPUTE_PGM_RSRC3_GFX90A:TG_SPLIT: 0
	.section	.AMDGPU.gpr_maximums,"",@progbits
	.set amdgpu.max_num_vgpr, 0
	.set amdgpu.max_num_agpr, 0
	.set amdgpu.max_num_sgpr, 0
	.section	.AMDGPU.csdata,"",@progbits
	.type	__hip_cuid_a16901173ddf1d9,@object ; @__hip_cuid_a16901173ddf1d9
	.section	.bss,"aw",@nobits
	.globl	__hip_cuid_a16901173ddf1d9
__hip_cuid_a16901173ddf1d9:
	.byte	0                               ; 0x0
	.size	__hip_cuid_a16901173ddf1d9, 1

	.ident	"AMD clang version 22.0.0git (https://github.com/RadeonOpenCompute/llvm-project roc-7.2.4 26084 f58b06dce1f9c15707c5f808fd002e18c2accf7e)"
	.section	".note.GNU-stack","",@progbits
	.addrsig
	.addrsig_sym __hip_cuid_a16901173ddf1d9
	.amdgpu_metadata
---
amdhsa.kernels:
  - .agpr_count:     0
    .args:
      - .address_space:  global
        .offset:         0
        .size:           8
        .value_kind:     global_buffer
      - .address_space:  global
        .offset:         8
        .size:           8
        .value_kind:     global_buffer
      - .offset:         16
        .size:           8
        .value_kind:     by_value
      - .offset:         24
        .size:           4
        .value_kind:     by_value
    .group_segment_fixed_size: 8
    .kernarg_segment_align: 8
    .kernarg_segment_size: 28
    .language:       OpenCL C
    .language_version:
      - 2
      - 0
    .max_flat_workgroup_size: 1024
    .name:           _ZN2at4cuda3cub15calc_block_sumsILi512ELi16ELb0EhhEEvPKT2_PT3_li
    .private_segment_fixed_size: 0
    .sgpr_count:     22
    .sgpr_spill_count: 0
    .symbol:         _ZN2at4cuda3cub15calc_block_sumsILi512ELi16ELb0EhhEEvPKT2_PT3_li.kd
    .uniform_work_group_size: 1
    .uses_dynamic_stack: false
    .vgpr_count:     44
    .vgpr_spill_count: 0
    .wavefront_size: 64
  - .agpr_count:     0
    .args:
      - .address_space:  global
        .offset:         0
        .size:           8
        .value_kind:     global_buffer
      - .address_space:  global
        .offset:         8
        .size:           8
        .value_kind:     global_buffer
      - .address_space:  global
        .offset:         16
        .size:           8
        .value_kind:     global_buffer
      - .offset:         24
        .size:           8
        .value_kind:     by_value
      - .offset:         32
        .size:           4
        .value_kind:     by_value
      - .offset:         40
        .size:           4
        .value_kind:     hidden_block_count_x
      - .offset:         44
        .size:           4
        .value_kind:     hidden_block_count_y
      - .offset:         48
        .size:           4
        .value_kind:     hidden_block_count_z
      - .offset:         52
        .size:           2
        .value_kind:     hidden_group_size_x
      - .offset:         54
        .size:           2
        .value_kind:     hidden_group_size_y
      - .offset:         56
        .size:           2
        .value_kind:     hidden_group_size_z
      - .offset:         58
        .size:           2
        .value_kind:     hidden_remainder_x
      - .offset:         60
        .size:           2
        .value_kind:     hidden_remainder_y
      - .offset:         62
        .size:           2
        .value_kind:     hidden_remainder_z
      - .offset:         80
        .size:           8
        .value_kind:     hidden_global_offset_x
      - .offset:         88
        .size:           8
        .value_kind:     hidden_global_offset_y
      - .offset:         96
        .size:           8
        .value_kind:     hidden_global_offset_z
      - .offset:         104
        .size:           2
        .value_kind:     hidden_grid_dims
    .group_segment_fixed_size: 8448
    .kernarg_segment_align: 8
    .kernarg_segment_size: 296
    .language:       OpenCL C
    .language_version:
      - 2
      - 0
    .max_flat_workgroup_size: 1024
    .name:           _ZN2at4cuda3cub17final_scan_kernelILi512ELi16EhEEvPKT1_PS3_S6_li
    .private_segment_fixed_size: 0
    .sgpr_count:     52
    .sgpr_spill_count: 0
    .symbol:         _ZN2at4cuda3cub17final_scan_kernelILi512ELi16EhEEvPKT1_PS3_S6_li.kd
    .uniform_work_group_size: 1
    .uses_dynamic_stack: false
    .vgpr_count:     93
    .vgpr_spill_count: 0
    .wavefront_size: 64
  - .agpr_count:     0
    .args:
      - .address_space:  global
        .offset:         0
        .size:           8
        .value_kind:     global_buffer
      - .offset:         8
        .size:           4
        .value_kind:     by_value
      - .offset:         12
        .size:           4
        .value_kind:     by_value
      - .address_space:  global
        .offset:         16
        .size:           8
        .value_kind:     global_buffer
      - .offset:         24
        .size:           4
        .value_kind:     hidden_block_count_x
      - .offset:         28
        .size:           4
        .value_kind:     hidden_block_count_y
      - .offset:         32
        .size:           4
        .value_kind:     hidden_block_count_z
      - .offset:         36
        .size:           2
        .value_kind:     hidden_group_size_x
      - .offset:         38
        .size:           2
        .value_kind:     hidden_group_size_y
      - .offset:         40
        .size:           2
        .value_kind:     hidden_group_size_z
      - .offset:         42
        .size:           2
        .value_kind:     hidden_remainder_x
      - .offset:         44
        .size:           2
        .value_kind:     hidden_remainder_y
      - .offset:         46
        .size:           2
        .value_kind:     hidden_remainder_z
      - .offset:         64
        .size:           8
        .value_kind:     hidden_global_offset_x
      - .offset:         72
        .size:           8
        .value_kind:     hidden_global_offset_y
      - .offset:         80
        .size:           8
        .value_kind:     hidden_global_offset_z
      - .offset:         88
        .size:           2
        .value_kind:     hidden_grid_dims
    .group_segment_fixed_size: 0
    .kernarg_segment_align: 8
    .kernarg_segment_size: 280
    .language:       OpenCL C
    .language_version:
      - 2
      - 0
    .max_flat_workgroup_size: 256
    .name:           _ZN7rocprim17ROCPRIM_304000_NS6detail31init_lookback_scan_state_kernelINS1_19lookback_scan_stateIhLb1ELb1EEEEEvT_jjPNS5_10value_typeE
    .private_segment_fixed_size: 0
    .sgpr_count:     20
    .sgpr_spill_count: 0
    .symbol:         _ZN7rocprim17ROCPRIM_304000_NS6detail31init_lookback_scan_state_kernelINS1_19lookback_scan_stateIhLb1ELb1EEEEEvT_jjPNS5_10value_typeE.kd
    .uniform_work_group_size: 1
    .uses_dynamic_stack: false
    .vgpr_count:     6
    .vgpr_spill_count: 0
    .wavefront_size: 64
  - .agpr_count:     0
    .args:
      - .address_space:  global
        .offset:         0
        .size:           8
        .value_kind:     global_buffer
      - .offset:         8
        .size:           4
        .value_kind:     by_value
      - .offset:         12
        .size:           4
        .value_kind:     by_value
      - .address_space:  global
        .offset:         16
        .size:           8
        .value_kind:     global_buffer
      - .offset:         24
        .size:           4
        .value_kind:     hidden_block_count_x
      - .offset:         28
        .size:           4
        .value_kind:     hidden_block_count_y
      - .offset:         32
        .size:           4
        .value_kind:     hidden_block_count_z
      - .offset:         36
        .size:           2
        .value_kind:     hidden_group_size_x
      - .offset:         38
        .size:           2
        .value_kind:     hidden_group_size_y
      - .offset:         40
        .size:           2
        .value_kind:     hidden_group_size_z
      - .offset:         42
        .size:           2
        .value_kind:     hidden_remainder_x
      - .offset:         44
        .size:           2
        .value_kind:     hidden_remainder_y
      - .offset:         46
        .size:           2
        .value_kind:     hidden_remainder_z
      - .offset:         64
        .size:           8
        .value_kind:     hidden_global_offset_x
      - .offset:         72
        .size:           8
        .value_kind:     hidden_global_offset_y
      - .offset:         80
        .size:           8
        .value_kind:     hidden_global_offset_z
      - .offset:         88
        .size:           2
        .value_kind:     hidden_grid_dims
    .group_segment_fixed_size: 0
    .kernarg_segment_align: 8
    .kernarg_segment_size: 280
    .language:       OpenCL C
    .language_version:
      - 2
      - 0
    .max_flat_workgroup_size: 256
    .name:           _ZN7rocprim17ROCPRIM_304000_NS6detail31init_lookback_scan_state_kernelINS1_19lookback_scan_stateIhLb0ELb1EEEEEvT_jjPNS5_10value_typeE
    .private_segment_fixed_size: 0
    .sgpr_count:     18
    .sgpr_spill_count: 0
    .symbol:         _ZN7rocprim17ROCPRIM_304000_NS6detail31init_lookback_scan_state_kernelINS1_19lookback_scan_stateIhLb0ELb1EEEEEvT_jjPNS5_10value_typeE.kd
    .uniform_work_group_size: 1
    .uses_dynamic_stack: false
    .vgpr_count:     6
    .vgpr_spill_count: 0
    .wavefront_size: 64
  - .agpr_count:     0
    .args:
      - .address_space:  global
        .offset:         0
        .size:           8
        .value_kind:     global_buffer
      - .address_space:  global
        .offset:         8
        .size:           8
        .value_kind:     global_buffer
      - .offset:         16
        .size:           8
        .value_kind:     by_value
      - .offset:         24
        .size:           1
        .value_kind:     by_value
      - .offset:         25
        .size:           1
        .value_kind:     by_value
      - .address_space:  global
        .offset:         32
        .size:           8
        .value_kind:     global_buffer
      - .offset:         40
        .size:           4
        .value_kind:     by_value
      - .address_space:  global
        .offset:         48
        .size:           8
        .value_kind:     global_buffer
      - .address_space:  global
        .offset:         56
        .size:           8
        .value_kind:     global_buffer
      - .offset:         64
        .size:           1
        .value_kind:     by_value
      - .offset:         65
        .size:           1
        .value_kind:     by_value
    .group_segment_fixed_size: 0
    .kernarg_segment_align: 8
    .kernarg_segment_size: 68
    .language:       OpenCL C
    .language_version:
      - 2
      - 0
    .max_flat_workgroup_size: 256
    .name:           _ZN7rocprim17ROCPRIM_304000_NS6detail20lookback_scan_kernelILNS1_25lookback_scan_determinismE0ELb0ENS1_19wrapped_scan_configINS0_14default_configEhEEPKhPhSt4plusIhEhhNS1_19lookback_scan_stateIhLb1ELb1EEEEEvT2_T3_mT5_T4_T7_jPT6_SK_bb
    .private_segment_fixed_size: 0
    .sgpr_count:     6
    .sgpr_spill_count: 0
    .symbol:         _ZN7rocprim17ROCPRIM_304000_NS6detail20lookback_scan_kernelILNS1_25lookback_scan_determinismE0ELb0ENS1_19wrapped_scan_configINS0_14default_configEhEEPKhPhSt4plusIhEhhNS1_19lookback_scan_stateIhLb1ELb1EEEEEvT2_T3_mT5_T4_T7_jPT6_SK_bb.kd
    .uniform_work_group_size: 1
    .uses_dynamic_stack: false
    .vgpr_count:     0
    .vgpr_spill_count: 0
    .wavefront_size: 64
  - .agpr_count:     0
    .args:
      - .address_space:  global
        .offset:         0
        .size:           8
        .value_kind:     global_buffer
      - .address_space:  global
        .offset:         8
        .size:           8
        .value_kind:     global_buffer
      - .offset:         16
        .size:           8
        .value_kind:     by_value
      - .offset:         24
        .size:           1
        .value_kind:     by_value
      - .offset:         25
        .size:           1
        .value_kind:     by_value
      - .address_space:  global
        .offset:         32
        .size:           8
        .value_kind:     global_buffer
      - .offset:         40
        .size:           4
        .value_kind:     by_value
      - .address_space:  global
        .offset:         48
        .size:           8
        .value_kind:     global_buffer
      - .address_space:  global
        .offset:         56
        .size:           8
        .value_kind:     global_buffer
      - .offset:         64
        .size:           1
        .value_kind:     by_value
      - .offset:         65
        .size:           1
        .value_kind:     by_value
    .group_segment_fixed_size: 6144
    .kernarg_segment_align: 8
    .kernarg_segment_size: 68
    .language:       OpenCL C
    .language_version:
      - 2
      - 0
    .max_flat_workgroup_size: 256
    .name:           _ZN7rocprim17ROCPRIM_304000_NS6detail20lookback_scan_kernelILNS1_25lookback_scan_determinismE0ELb0ENS1_19wrapped_scan_configINS0_14default_configEhEEPKhPhSt4plusIhEhhNS1_19lookback_scan_stateIhLb0ELb1EEEEEvT2_T3_mT5_T4_T7_jPT6_SK_bb
    .private_segment_fixed_size: 0
    .sgpr_count:     32
    .sgpr_spill_count: 0
    .symbol:         _ZN7rocprim17ROCPRIM_304000_NS6detail20lookback_scan_kernelILNS1_25lookback_scan_determinismE0ELb0ENS1_19wrapped_scan_configINS0_14default_configEhEEPKhPhSt4plusIhEhhNS1_19lookback_scan_stateIhLb0ELb1EEEEEvT2_T3_mT5_T4_T7_jPT6_SK_bb.kd
    .uniform_work_group_size: 1
    .uses_dynamic_stack: false
    .vgpr_count:     45
    .vgpr_spill_count: 0
    .wavefront_size: 64
  - .agpr_count:     0
    .args:
      - .address_space:  global
        .offset:         0
        .size:           8
        .value_kind:     global_buffer
      - .offset:         8
        .size:           8
        .value_kind:     by_value
      - .address_space:  global
        .offset:         16
        .size:           8
        .value_kind:     global_buffer
      - .offset:         24
        .size:           1
        .value_kind:     by_value
      - .offset:         32
        .size:           4
        .value_kind:     hidden_block_count_x
      - .offset:         36
        .size:           4
        .value_kind:     hidden_block_count_y
      - .offset:         40
        .size:           4
        .value_kind:     hidden_block_count_z
      - .offset:         44
        .size:           2
        .value_kind:     hidden_group_size_x
      - .offset:         46
        .size:           2
        .value_kind:     hidden_group_size_y
      - .offset:         48
        .size:           2
        .value_kind:     hidden_group_size_z
      - .offset:         50
        .size:           2
        .value_kind:     hidden_remainder_x
      - .offset:         52
        .size:           2
        .value_kind:     hidden_remainder_y
      - .offset:         54
        .size:           2
        .value_kind:     hidden_remainder_z
      - .offset:         72
        .size:           8
        .value_kind:     hidden_global_offset_x
      - .offset:         80
        .size:           8
        .value_kind:     hidden_global_offset_y
      - .offset:         88
        .size:           8
        .value_kind:     hidden_global_offset_z
      - .offset:         96
        .size:           2
        .value_kind:     hidden_grid_dims
    .group_segment_fixed_size: 0
    .kernarg_segment_align: 8
    .kernarg_segment_size: 288
    .language:       OpenCL C
    .language_version:
      - 2
      - 0
    .max_flat_workgroup_size: 128
    .name:           _ZN7rocprim17ROCPRIM_304000_NS6detail16transform_kernelINS1_24wrapped_transform_configINS0_14default_configEhEEhPhS6_NS0_8identityIhEEEEvT1_mT2_T3_
    .private_segment_fixed_size: 0
    .sgpr_count:     27
    .sgpr_spill_count: 0
    .symbol:         _ZN7rocprim17ROCPRIM_304000_NS6detail16transform_kernelINS1_24wrapped_transform_configINS0_14default_configEhEEhPhS6_NS0_8identityIhEEEEvT1_mT2_T3_.kd
    .uniform_work_group_size: 1
    .uses_dynamic_stack: false
    .vgpr_count:     19
    .vgpr_spill_count: 0
    .wavefront_size: 64
  - .agpr_count:     0
    .args:
      - .address_space:  global
        .offset:         0
        .size:           8
        .value_kind:     global_buffer
      - .offset:         8
        .size:           8
        .value_kind:     by_value
      - .offset:         16
        .size:           1
        .value_kind:     by_value
      - .address_space:  global
        .offset:         24
        .size:           8
        .value_kind:     global_buffer
      - .offset:         32
        .size:           1
        .value_kind:     by_value
    .group_segment_fixed_size: 6144
    .kernarg_segment_align: 8
    .kernarg_segment_size: 36
    .language:       OpenCL C
    .language_version:
      - 2
      - 0
    .max_flat_workgroup_size: 256
    .name:           _ZN7rocprim17ROCPRIM_304000_NS6detail18single_scan_kernelILb0ENS1_19wrapped_scan_configINS0_14default_configEhEEPKhPhSt4plusIhEhhEEvT1_mT4_T2_T3_
    .private_segment_fixed_size: 0
    .sgpr_count:     60
    .sgpr_spill_count: 0
    .symbol:         _ZN7rocprim17ROCPRIM_304000_NS6detail18single_scan_kernelILb0ENS1_19wrapped_scan_configINS0_14default_configEhEEPKhPhSt4plusIhEhhEEvT1_mT4_T2_T3_.kd
    .uniform_work_group_size: 1
    .uses_dynamic_stack: false
    .vgpr_count:     27
    .vgpr_spill_count: 0
    .wavefront_size: 64
  - .agpr_count:     0
    .args:
      - .address_space:  global
        .offset:         0
        .size:           8
        .value_kind:     global_buffer
      - .address_space:  global
        .offset:         8
        .size:           8
        .value_kind:     global_buffer
      - .offset:         16
        .size:           4
        .value_kind:     by_value
      - .offset:         20
        .size:           4
        .value_kind:     by_value
      - .offset:         24
        .size:           4
        .value_kind:     by_value
      - .offset:         28
        .size:           1
        .value_kind:     by_value
      - .offset:         29
        .size:           1
        .value_kind:     by_value
      - .offset:         32
        .size:           4
        .value_kind:     hidden_block_count_x
      - .offset:         36
        .size:           4
        .value_kind:     hidden_block_count_y
      - .offset:         40
        .size:           4
        .value_kind:     hidden_block_count_z
      - .offset:         44
        .size:           2
        .value_kind:     hidden_group_size_x
      - .offset:         46
        .size:           2
        .value_kind:     hidden_group_size_y
      - .offset:         48
        .size:           2
        .value_kind:     hidden_group_size_z
      - .offset:         50
        .size:           2
        .value_kind:     hidden_remainder_x
      - .offset:         52
        .size:           2
        .value_kind:     hidden_remainder_y
      - .offset:         54
        .size:           2
        .value_kind:     hidden_remainder_z
      - .offset:         72
        .size:           8
        .value_kind:     hidden_global_offset_x
      - .offset:         80
        .size:           8
        .value_kind:     hidden_global_offset_y
      - .offset:         88
        .size:           8
        .value_kind:     hidden_global_offset_z
      - .offset:         96
        .size:           2
        .value_kind:     hidden_grid_dims
      - .offset:         152
        .size:           4
        .value_kind:     hidden_dynamic_lds_size
    .group_segment_fixed_size: 0
    .kernarg_segment_align: 8
    .kernarg_segment_size: 288
    .language:       OpenCL C
    .language_version:
      - 2
      - 0
    .max_flat_workgroup_size: 1024
    .name:           _ZN2at6native32tensor_kernel_scan_innermost_dimIhSt4plusIhEEEvPT_PKS4_jjjS4_T0_
    .private_segment_fixed_size: 0
    .sgpr_count:     40
    .sgpr_spill_count: 0
    .symbol:         _ZN2at6native32tensor_kernel_scan_innermost_dimIhSt4plusIhEEEvPT_PKS4_jjjS4_T0_.kd
    .uniform_work_group_size: 1
    .uses_dynamic_stack: false
    .vgpr_count:     24
    .vgpr_spill_count: 0
    .wavefront_size: 64
  - .agpr_count:     0
    .args:
      - .address_space:  global
        .offset:         0
        .size:           8
        .value_kind:     global_buffer
      - .address_space:  global
        .offset:         8
        .size:           8
        .value_kind:     global_buffer
      - .offset:         16
        .size:           4
        .value_kind:     by_value
      - .offset:         20
        .size:           4
        .value_kind:     by_value
      - .offset:         24
        .size:           4
        .value_kind:     by_value
      - .offset:         28
        .size:           1
        .value_kind:     by_value
      - .offset:         29
        .size:           1
        .value_kind:     by_value
      - .offset:         32
        .size:           4
        .value_kind:     hidden_block_count_x
      - .offset:         36
        .size:           4
        .value_kind:     hidden_block_count_y
      - .offset:         40
        .size:           4
        .value_kind:     hidden_block_count_z
      - .offset:         44
        .size:           2
        .value_kind:     hidden_group_size_x
      - .offset:         46
        .size:           2
        .value_kind:     hidden_group_size_y
      - .offset:         48
        .size:           2
        .value_kind:     hidden_group_size_z
      - .offset:         50
        .size:           2
        .value_kind:     hidden_remainder_x
      - .offset:         52
        .size:           2
        .value_kind:     hidden_remainder_y
      - .offset:         54
        .size:           2
        .value_kind:     hidden_remainder_z
      - .offset:         72
        .size:           8
        .value_kind:     hidden_global_offset_x
      - .offset:         80
        .size:           8
        .value_kind:     hidden_global_offset_y
      - .offset:         88
        .size:           8
        .value_kind:     hidden_global_offset_z
      - .offset:         96
        .size:           2
        .value_kind:     hidden_grid_dims
    .group_segment_fixed_size: 0
    .kernarg_segment_align: 8
    .kernarg_segment_size: 288
    .language:       OpenCL C
    .language_version:
      - 2
      - 0
    .max_flat_workgroup_size: 1024
    .name:           _ZN2at6native28tensor_kernel_scan_outer_dimIhjSt4plusIhEEEvPT_PKS4_jjjS4_T1_
    .private_segment_fixed_size: 0
    .sgpr_count:     34
    .sgpr_spill_count: 0
    .symbol:         _ZN2at6native28tensor_kernel_scan_outer_dimIhjSt4plusIhEEEvPT_PKS4_jjjS4_T1_.kd
    .uniform_work_group_size: 1
    .uses_dynamic_stack: false
    .vgpr_count:     9
    .vgpr_spill_count: 0
    .wavefront_size: 64
  - .agpr_count:     0
    .args:
      - .address_space:  global
        .offset:         0
        .size:           8
        .value_kind:     global_buffer
      - .address_space:  global
        .offset:         8
        .size:           8
        .value_kind:     global_buffer
      - .offset:         16
        .size:           4
        .value_kind:     by_value
      - .offset:         20
        .size:           4
        .value_kind:     by_value
      - .offset:         24
        .size:           4
        .value_kind:     by_value
      - .offset:         28
        .size:           1
        .value_kind:     by_value
      - .offset:         29
        .size:           1
        .value_kind:     by_value
      - .offset:         32
        .size:           4
        .value_kind:     hidden_block_count_x
      - .offset:         36
        .size:           4
        .value_kind:     hidden_block_count_y
      - .offset:         40
        .size:           4
        .value_kind:     hidden_block_count_z
      - .offset:         44
        .size:           2
        .value_kind:     hidden_group_size_x
      - .offset:         46
        .size:           2
        .value_kind:     hidden_group_size_y
      - .offset:         48
        .size:           2
        .value_kind:     hidden_group_size_z
      - .offset:         50
        .size:           2
        .value_kind:     hidden_remainder_x
      - .offset:         52
        .size:           2
        .value_kind:     hidden_remainder_y
      - .offset:         54
        .size:           2
        .value_kind:     hidden_remainder_z
      - .offset:         72
        .size:           8
        .value_kind:     hidden_global_offset_x
      - .offset:         80
        .size:           8
        .value_kind:     hidden_global_offset_y
      - .offset:         88
        .size:           8
        .value_kind:     hidden_global_offset_z
      - .offset:         96
        .size:           2
        .value_kind:     hidden_grid_dims
    .group_segment_fixed_size: 0
    .kernarg_segment_align: 8
    .kernarg_segment_size: 288
    .language:       OpenCL C
    .language_version:
      - 2
      - 0
    .max_flat_workgroup_size: 1024
    .name:           _ZN2at6native28tensor_kernel_scan_outer_dimIhmSt4plusIhEEEvPT_PKS4_jjjS4_T1_
    .private_segment_fixed_size: 0
    .sgpr_count:     35
    .sgpr_spill_count: 0
    .symbol:         _ZN2at6native28tensor_kernel_scan_outer_dimIhmSt4plusIhEEEvPT_PKS4_jjjS4_T1_.kd
    .uniform_work_group_size: 1
    .uses_dynamic_stack: false
    .vgpr_count:     9
    .vgpr_spill_count: 0
    .wavefront_size: 64
  - .agpr_count:     0
    .args:
      - .address_space:  global
        .offset:         0
        .size:           8
        .value_kind:     global_buffer
      - .address_space:  global
        .offset:         8
        .size:           8
        .value_kind:     global_buffer
      - .offset:         16
        .size:           8
        .value_kind:     by_value
      - .offset:         24
        .size:           4
        .value_kind:     by_value
    .group_segment_fixed_size: 8
    .kernarg_segment_align: 8
    .kernarg_segment_size: 28
    .language:       OpenCL C
    .language_version:
      - 2
      - 0
    .max_flat_workgroup_size: 1024
    .name:           _ZN2at4cuda3cub15calc_block_sumsILi512ELi16ELb0EaaEEvPKT2_PT3_li
    .private_segment_fixed_size: 0
    .sgpr_count:     22
    .sgpr_spill_count: 0
    .symbol:         _ZN2at4cuda3cub15calc_block_sumsILi512ELi16ELb0EaaEEvPKT2_PT3_li.kd
    .uniform_work_group_size: 1
    .uses_dynamic_stack: false
    .vgpr_count:     44
    .vgpr_spill_count: 0
    .wavefront_size: 64
  - .agpr_count:     0
    .args:
      - .address_space:  global
        .offset:         0
        .size:           8
        .value_kind:     global_buffer
      - .address_space:  global
        .offset:         8
        .size:           8
        .value_kind:     global_buffer
      - .address_space:  global
        .offset:         16
        .size:           8
        .value_kind:     global_buffer
      - .offset:         24
        .size:           8
        .value_kind:     by_value
      - .offset:         32
        .size:           4
        .value_kind:     by_value
      - .offset:         40
        .size:           4
        .value_kind:     hidden_block_count_x
      - .offset:         44
        .size:           4
        .value_kind:     hidden_block_count_y
      - .offset:         48
        .size:           4
        .value_kind:     hidden_block_count_z
      - .offset:         52
        .size:           2
        .value_kind:     hidden_group_size_x
      - .offset:         54
        .size:           2
        .value_kind:     hidden_group_size_y
      - .offset:         56
        .size:           2
        .value_kind:     hidden_group_size_z
      - .offset:         58
        .size:           2
        .value_kind:     hidden_remainder_x
      - .offset:         60
        .size:           2
        .value_kind:     hidden_remainder_y
      - .offset:         62
        .size:           2
        .value_kind:     hidden_remainder_z
      - .offset:         80
        .size:           8
        .value_kind:     hidden_global_offset_x
      - .offset:         88
        .size:           8
        .value_kind:     hidden_global_offset_y
      - .offset:         96
        .size:           8
        .value_kind:     hidden_global_offset_z
      - .offset:         104
        .size:           2
        .value_kind:     hidden_grid_dims
    .group_segment_fixed_size: 8448
    .kernarg_segment_align: 8
    .kernarg_segment_size: 296
    .language:       OpenCL C
    .language_version:
      - 2
      - 0
    .max_flat_workgroup_size: 1024
    .name:           _ZN2at4cuda3cub17final_scan_kernelILi512ELi16EaEEvPKT1_PS3_S6_li
    .private_segment_fixed_size: 0
    .sgpr_count:     52
    .sgpr_spill_count: 0
    .symbol:         _ZN2at4cuda3cub17final_scan_kernelILi512ELi16EaEEvPKT1_PS3_S6_li.kd
    .uniform_work_group_size: 1
    .uses_dynamic_stack: false
    .vgpr_count:     93
    .vgpr_spill_count: 0
    .wavefront_size: 64
  - .agpr_count:     0
    .args:
      - .address_space:  global
        .offset:         0
        .size:           8
        .value_kind:     global_buffer
      - .offset:         8
        .size:           4
        .value_kind:     by_value
      - .offset:         12
        .size:           4
        .value_kind:     by_value
      - .address_space:  global
        .offset:         16
        .size:           8
        .value_kind:     global_buffer
      - .offset:         24
        .size:           4
        .value_kind:     hidden_block_count_x
      - .offset:         28
        .size:           4
        .value_kind:     hidden_block_count_y
      - .offset:         32
        .size:           4
        .value_kind:     hidden_block_count_z
      - .offset:         36
        .size:           2
        .value_kind:     hidden_group_size_x
      - .offset:         38
        .size:           2
        .value_kind:     hidden_group_size_y
      - .offset:         40
        .size:           2
        .value_kind:     hidden_group_size_z
      - .offset:         42
        .size:           2
        .value_kind:     hidden_remainder_x
      - .offset:         44
        .size:           2
        .value_kind:     hidden_remainder_y
      - .offset:         46
        .size:           2
        .value_kind:     hidden_remainder_z
      - .offset:         64
        .size:           8
        .value_kind:     hidden_global_offset_x
      - .offset:         72
        .size:           8
        .value_kind:     hidden_global_offset_y
      - .offset:         80
        .size:           8
        .value_kind:     hidden_global_offset_z
      - .offset:         88
        .size:           2
        .value_kind:     hidden_grid_dims
    .group_segment_fixed_size: 0
    .kernarg_segment_align: 8
    .kernarg_segment_size: 280
    .language:       OpenCL C
    .language_version:
      - 2
      - 0
    .max_flat_workgroup_size: 256
    .name:           _ZN7rocprim17ROCPRIM_304000_NS6detail31init_lookback_scan_state_kernelINS1_19lookback_scan_stateIaLb1ELb1EEEEEvT_jjPNS5_10value_typeE
    .private_segment_fixed_size: 0
    .sgpr_count:     20
    .sgpr_spill_count: 0
    .symbol:         _ZN7rocprim17ROCPRIM_304000_NS6detail31init_lookback_scan_state_kernelINS1_19lookback_scan_stateIaLb1ELb1EEEEEvT_jjPNS5_10value_typeE.kd
    .uniform_work_group_size: 1
    .uses_dynamic_stack: false
    .vgpr_count:     6
    .vgpr_spill_count: 0
    .wavefront_size: 64
  - .agpr_count:     0
    .args:
      - .address_space:  global
        .offset:         0
        .size:           8
        .value_kind:     global_buffer
      - .offset:         8
        .size:           4
        .value_kind:     by_value
      - .offset:         12
        .size:           4
        .value_kind:     by_value
      - .address_space:  global
        .offset:         16
        .size:           8
        .value_kind:     global_buffer
      - .offset:         24
        .size:           4
        .value_kind:     hidden_block_count_x
      - .offset:         28
        .size:           4
        .value_kind:     hidden_block_count_y
      - .offset:         32
        .size:           4
        .value_kind:     hidden_block_count_z
      - .offset:         36
        .size:           2
        .value_kind:     hidden_group_size_x
      - .offset:         38
        .size:           2
        .value_kind:     hidden_group_size_y
      - .offset:         40
        .size:           2
        .value_kind:     hidden_group_size_z
      - .offset:         42
        .size:           2
        .value_kind:     hidden_remainder_x
      - .offset:         44
        .size:           2
        .value_kind:     hidden_remainder_y
      - .offset:         46
        .size:           2
        .value_kind:     hidden_remainder_z
      - .offset:         64
        .size:           8
        .value_kind:     hidden_global_offset_x
      - .offset:         72
        .size:           8
        .value_kind:     hidden_global_offset_y
      - .offset:         80
        .size:           8
        .value_kind:     hidden_global_offset_z
      - .offset:         88
        .size:           2
        .value_kind:     hidden_grid_dims
    .group_segment_fixed_size: 0
    .kernarg_segment_align: 8
    .kernarg_segment_size: 280
    .language:       OpenCL C
    .language_version:
      - 2
      - 0
    .max_flat_workgroup_size: 256
    .name:           _ZN7rocprim17ROCPRIM_304000_NS6detail31init_lookback_scan_state_kernelINS1_19lookback_scan_stateIaLb0ELb1EEEEEvT_jjPNS5_10value_typeE
    .private_segment_fixed_size: 0
    .sgpr_count:     18
    .sgpr_spill_count: 0
    .symbol:         _ZN7rocprim17ROCPRIM_304000_NS6detail31init_lookback_scan_state_kernelINS1_19lookback_scan_stateIaLb0ELb1EEEEEvT_jjPNS5_10value_typeE.kd
    .uniform_work_group_size: 1
    .uses_dynamic_stack: false
    .vgpr_count:     6
    .vgpr_spill_count: 0
    .wavefront_size: 64
  - .agpr_count:     0
    .args:
      - .address_space:  global
        .offset:         0
        .size:           8
        .value_kind:     global_buffer
      - .address_space:  global
        .offset:         8
        .size:           8
        .value_kind:     global_buffer
      - .offset:         16
        .size:           8
        .value_kind:     by_value
      - .offset:         24
        .size:           1
        .value_kind:     by_value
      - .offset:         25
        .size:           1
        .value_kind:     by_value
      - .address_space:  global
        .offset:         32
        .size:           8
        .value_kind:     global_buffer
      - .offset:         40
        .size:           4
        .value_kind:     by_value
      - .address_space:  global
        .offset:         48
        .size:           8
        .value_kind:     global_buffer
      - .address_space:  global
        .offset:         56
        .size:           8
        .value_kind:     global_buffer
      - .offset:         64
        .size:           1
        .value_kind:     by_value
      - .offset:         65
        .size:           1
        .value_kind:     by_value
    .group_segment_fixed_size: 0
    .kernarg_segment_align: 8
    .kernarg_segment_size: 68
    .language:       OpenCL C
    .language_version:
      - 2
      - 0
    .max_flat_workgroup_size: 256
    .name:           _ZN7rocprim17ROCPRIM_304000_NS6detail20lookback_scan_kernelILNS1_25lookback_scan_determinismE0ELb0ENS1_19wrapped_scan_configINS0_14default_configEaEEPKaPaSt4plusIaEaaNS1_19lookback_scan_stateIaLb1ELb1EEEEEvT2_T3_mT5_T4_T7_jPT6_SK_bb
    .private_segment_fixed_size: 0
    .sgpr_count:     6
    .sgpr_spill_count: 0
    .symbol:         _ZN7rocprim17ROCPRIM_304000_NS6detail20lookback_scan_kernelILNS1_25lookback_scan_determinismE0ELb0ENS1_19wrapped_scan_configINS0_14default_configEaEEPKaPaSt4plusIaEaaNS1_19lookback_scan_stateIaLb1ELb1EEEEEvT2_T3_mT5_T4_T7_jPT6_SK_bb.kd
    .uniform_work_group_size: 1
    .uses_dynamic_stack: false
    .vgpr_count:     0
    .vgpr_spill_count: 0
    .wavefront_size: 64
  - .agpr_count:     0
    .args:
      - .address_space:  global
        .offset:         0
        .size:           8
        .value_kind:     global_buffer
      - .address_space:  global
        .offset:         8
        .size:           8
        .value_kind:     global_buffer
      - .offset:         16
        .size:           8
        .value_kind:     by_value
      - .offset:         24
        .size:           1
        .value_kind:     by_value
      - .offset:         25
        .size:           1
        .value_kind:     by_value
      - .address_space:  global
        .offset:         32
        .size:           8
        .value_kind:     global_buffer
      - .offset:         40
        .size:           4
        .value_kind:     by_value
      - .address_space:  global
        .offset:         48
        .size:           8
        .value_kind:     global_buffer
      - .address_space:  global
        .offset:         56
        .size:           8
        .value_kind:     global_buffer
      - .offset:         64
        .size:           1
        .value_kind:     by_value
      - .offset:         65
        .size:           1
        .value_kind:     by_value
    .group_segment_fixed_size: 6144
    .kernarg_segment_align: 8
    .kernarg_segment_size: 68
    .language:       OpenCL C
    .language_version:
      - 2
      - 0
    .max_flat_workgroup_size: 256
    .name:           _ZN7rocprim17ROCPRIM_304000_NS6detail20lookback_scan_kernelILNS1_25lookback_scan_determinismE0ELb0ENS1_19wrapped_scan_configINS0_14default_configEaEEPKaPaSt4plusIaEaaNS1_19lookback_scan_stateIaLb0ELb1EEEEEvT2_T3_mT5_T4_T7_jPT6_SK_bb
    .private_segment_fixed_size: 0
    .sgpr_count:     32
    .sgpr_spill_count: 0
    .symbol:         _ZN7rocprim17ROCPRIM_304000_NS6detail20lookback_scan_kernelILNS1_25lookback_scan_determinismE0ELb0ENS1_19wrapped_scan_configINS0_14default_configEaEEPKaPaSt4plusIaEaaNS1_19lookback_scan_stateIaLb0ELb1EEEEEvT2_T3_mT5_T4_T7_jPT6_SK_bb.kd
    .uniform_work_group_size: 1
    .uses_dynamic_stack: false
    .vgpr_count:     45
    .vgpr_spill_count: 0
    .wavefront_size: 64
  - .agpr_count:     0
    .args:
      - .address_space:  global
        .offset:         0
        .size:           8
        .value_kind:     global_buffer
      - .offset:         8
        .size:           8
        .value_kind:     by_value
      - .address_space:  global
        .offset:         16
        .size:           8
        .value_kind:     global_buffer
      - .offset:         24
        .size:           1
        .value_kind:     by_value
      - .offset:         32
        .size:           4
        .value_kind:     hidden_block_count_x
      - .offset:         36
        .size:           4
        .value_kind:     hidden_block_count_y
      - .offset:         40
        .size:           4
        .value_kind:     hidden_block_count_z
      - .offset:         44
        .size:           2
        .value_kind:     hidden_group_size_x
      - .offset:         46
        .size:           2
        .value_kind:     hidden_group_size_y
      - .offset:         48
        .size:           2
        .value_kind:     hidden_group_size_z
      - .offset:         50
        .size:           2
        .value_kind:     hidden_remainder_x
      - .offset:         52
        .size:           2
        .value_kind:     hidden_remainder_y
      - .offset:         54
        .size:           2
        .value_kind:     hidden_remainder_z
      - .offset:         72
        .size:           8
        .value_kind:     hidden_global_offset_x
      - .offset:         80
        .size:           8
        .value_kind:     hidden_global_offset_y
      - .offset:         88
        .size:           8
        .value_kind:     hidden_global_offset_z
      - .offset:         96
        .size:           2
        .value_kind:     hidden_grid_dims
    .group_segment_fixed_size: 0
    .kernarg_segment_align: 8
    .kernarg_segment_size: 288
    .language:       OpenCL C
    .language_version:
      - 2
      - 0
    .max_flat_workgroup_size: 128
    .name:           _ZN7rocprim17ROCPRIM_304000_NS6detail16transform_kernelINS1_24wrapped_transform_configINS0_14default_configEaEEaPaS6_NS0_8identityIaEEEEvT1_mT2_T3_
    .private_segment_fixed_size: 0
    .sgpr_count:     27
    .sgpr_spill_count: 0
    .symbol:         _ZN7rocprim17ROCPRIM_304000_NS6detail16transform_kernelINS1_24wrapped_transform_configINS0_14default_configEaEEaPaS6_NS0_8identityIaEEEEvT1_mT2_T3_.kd
    .uniform_work_group_size: 1
    .uses_dynamic_stack: false
    .vgpr_count:     19
    .vgpr_spill_count: 0
    .wavefront_size: 64
  - .agpr_count:     0
    .args:
      - .address_space:  global
        .offset:         0
        .size:           8
        .value_kind:     global_buffer
      - .offset:         8
        .size:           8
        .value_kind:     by_value
      - .offset:         16
        .size:           1
        .value_kind:     by_value
      - .address_space:  global
        .offset:         24
        .size:           8
        .value_kind:     global_buffer
      - .offset:         32
        .size:           1
        .value_kind:     by_value
    .group_segment_fixed_size: 6144
    .kernarg_segment_align: 8
    .kernarg_segment_size: 36
    .language:       OpenCL C
    .language_version:
      - 2
      - 0
    .max_flat_workgroup_size: 256
    .name:           _ZN7rocprim17ROCPRIM_304000_NS6detail18single_scan_kernelILb0ENS1_19wrapped_scan_configINS0_14default_configEaEEPKaPaSt4plusIaEaaEEvT1_mT4_T2_T3_
    .private_segment_fixed_size: 0
    .sgpr_count:     60
    .sgpr_spill_count: 0
    .symbol:         _ZN7rocprim17ROCPRIM_304000_NS6detail18single_scan_kernelILb0ENS1_19wrapped_scan_configINS0_14default_configEaEEPKaPaSt4plusIaEaaEEvT1_mT4_T2_T3_.kd
    .uniform_work_group_size: 1
    .uses_dynamic_stack: false
    .vgpr_count:     27
    .vgpr_spill_count: 0
    .wavefront_size: 64
  - .agpr_count:     0
    .args:
      - .address_space:  global
        .offset:         0
        .size:           8
        .value_kind:     global_buffer
      - .address_space:  global
        .offset:         8
        .size:           8
        .value_kind:     global_buffer
      - .offset:         16
        .size:           4
        .value_kind:     by_value
      - .offset:         20
        .size:           4
        .value_kind:     by_value
      - .offset:         24
        .size:           4
        .value_kind:     by_value
      - .offset:         28
        .size:           1
        .value_kind:     by_value
      - .offset:         29
        .size:           1
        .value_kind:     by_value
      - .offset:         32
        .size:           4
        .value_kind:     hidden_block_count_x
      - .offset:         36
        .size:           4
        .value_kind:     hidden_block_count_y
      - .offset:         40
        .size:           4
        .value_kind:     hidden_block_count_z
      - .offset:         44
        .size:           2
        .value_kind:     hidden_group_size_x
      - .offset:         46
        .size:           2
        .value_kind:     hidden_group_size_y
      - .offset:         48
        .size:           2
        .value_kind:     hidden_group_size_z
      - .offset:         50
        .size:           2
        .value_kind:     hidden_remainder_x
      - .offset:         52
        .size:           2
        .value_kind:     hidden_remainder_y
      - .offset:         54
        .size:           2
        .value_kind:     hidden_remainder_z
      - .offset:         72
        .size:           8
        .value_kind:     hidden_global_offset_x
      - .offset:         80
        .size:           8
        .value_kind:     hidden_global_offset_y
      - .offset:         88
        .size:           8
        .value_kind:     hidden_global_offset_z
      - .offset:         96
        .size:           2
        .value_kind:     hidden_grid_dims
      - .offset:         152
        .size:           4
        .value_kind:     hidden_dynamic_lds_size
    .group_segment_fixed_size: 0
    .kernarg_segment_align: 8
    .kernarg_segment_size: 288
    .language:       OpenCL C
    .language_version:
      - 2
      - 0
    .max_flat_workgroup_size: 1024
    .name:           _ZN2at6native32tensor_kernel_scan_innermost_dimIaSt4plusIaEEEvPT_PKS4_jjjS4_T0_
    .private_segment_fixed_size: 0
    .sgpr_count:     40
    .sgpr_spill_count: 0
    .symbol:         _ZN2at6native32tensor_kernel_scan_innermost_dimIaSt4plusIaEEEvPT_PKS4_jjjS4_T0_.kd
    .uniform_work_group_size: 1
    .uses_dynamic_stack: false
    .vgpr_count:     24
    .vgpr_spill_count: 0
    .wavefront_size: 64
  - .agpr_count:     0
    .args:
      - .address_space:  global
        .offset:         0
        .size:           8
        .value_kind:     global_buffer
      - .address_space:  global
        .offset:         8
        .size:           8
        .value_kind:     global_buffer
      - .offset:         16
        .size:           4
        .value_kind:     by_value
      - .offset:         20
        .size:           4
        .value_kind:     by_value
      - .offset:         24
        .size:           4
        .value_kind:     by_value
      - .offset:         28
        .size:           1
        .value_kind:     by_value
      - .offset:         29
        .size:           1
        .value_kind:     by_value
      - .offset:         32
        .size:           4
        .value_kind:     hidden_block_count_x
      - .offset:         36
        .size:           4
        .value_kind:     hidden_block_count_y
      - .offset:         40
        .size:           4
        .value_kind:     hidden_block_count_z
      - .offset:         44
        .size:           2
        .value_kind:     hidden_group_size_x
      - .offset:         46
        .size:           2
        .value_kind:     hidden_group_size_y
      - .offset:         48
        .size:           2
        .value_kind:     hidden_group_size_z
      - .offset:         50
        .size:           2
        .value_kind:     hidden_remainder_x
      - .offset:         52
        .size:           2
        .value_kind:     hidden_remainder_y
      - .offset:         54
        .size:           2
        .value_kind:     hidden_remainder_z
      - .offset:         72
        .size:           8
        .value_kind:     hidden_global_offset_x
      - .offset:         80
        .size:           8
        .value_kind:     hidden_global_offset_y
      - .offset:         88
        .size:           8
        .value_kind:     hidden_global_offset_z
      - .offset:         96
        .size:           2
        .value_kind:     hidden_grid_dims
    .group_segment_fixed_size: 0
    .kernarg_segment_align: 8
    .kernarg_segment_size: 288
    .language:       OpenCL C
    .language_version:
      - 2
      - 0
    .max_flat_workgroup_size: 1024
    .name:           _ZN2at6native28tensor_kernel_scan_outer_dimIajSt4plusIaEEEvPT_PKS4_jjjS4_T1_
    .private_segment_fixed_size: 0
    .sgpr_count:     34
    .sgpr_spill_count: 0
    .symbol:         _ZN2at6native28tensor_kernel_scan_outer_dimIajSt4plusIaEEEvPT_PKS4_jjjS4_T1_.kd
    .uniform_work_group_size: 1
    .uses_dynamic_stack: false
    .vgpr_count:     9
    .vgpr_spill_count: 0
    .wavefront_size: 64
  - .agpr_count:     0
    .args:
      - .address_space:  global
        .offset:         0
        .size:           8
        .value_kind:     global_buffer
      - .address_space:  global
        .offset:         8
        .size:           8
        .value_kind:     global_buffer
      - .offset:         16
        .size:           4
        .value_kind:     by_value
      - .offset:         20
        .size:           4
        .value_kind:     by_value
      - .offset:         24
        .size:           4
        .value_kind:     by_value
      - .offset:         28
        .size:           1
        .value_kind:     by_value
      - .offset:         29
        .size:           1
        .value_kind:     by_value
      - .offset:         32
        .size:           4
        .value_kind:     hidden_block_count_x
      - .offset:         36
        .size:           4
        .value_kind:     hidden_block_count_y
      - .offset:         40
        .size:           4
        .value_kind:     hidden_block_count_z
      - .offset:         44
        .size:           2
        .value_kind:     hidden_group_size_x
      - .offset:         46
        .size:           2
        .value_kind:     hidden_group_size_y
      - .offset:         48
        .size:           2
        .value_kind:     hidden_group_size_z
      - .offset:         50
        .size:           2
        .value_kind:     hidden_remainder_x
      - .offset:         52
        .size:           2
        .value_kind:     hidden_remainder_y
      - .offset:         54
        .size:           2
        .value_kind:     hidden_remainder_z
      - .offset:         72
        .size:           8
        .value_kind:     hidden_global_offset_x
      - .offset:         80
        .size:           8
        .value_kind:     hidden_global_offset_y
      - .offset:         88
        .size:           8
        .value_kind:     hidden_global_offset_z
      - .offset:         96
        .size:           2
        .value_kind:     hidden_grid_dims
    .group_segment_fixed_size: 0
    .kernarg_segment_align: 8
    .kernarg_segment_size: 288
    .language:       OpenCL C
    .language_version:
      - 2
      - 0
    .max_flat_workgroup_size: 1024
    .name:           _ZN2at6native28tensor_kernel_scan_outer_dimIamSt4plusIaEEEvPT_PKS4_jjjS4_T1_
    .private_segment_fixed_size: 0
    .sgpr_count:     35
    .sgpr_spill_count: 0
    .symbol:         _ZN2at6native28tensor_kernel_scan_outer_dimIamSt4plusIaEEEvPT_PKS4_jjjS4_T1_.kd
    .uniform_work_group_size: 1
    .uses_dynamic_stack: false
    .vgpr_count:     9
    .vgpr_spill_count: 0
    .wavefront_size: 64
  - .agpr_count:     0
    .args:
      - .address_space:  global
        .offset:         0
        .size:           8
        .value_kind:     global_buffer
      - .address_space:  global
        .offset:         8
        .size:           8
        .value_kind:     global_buffer
      - .offset:         16
        .size:           8
        .value_kind:     by_value
      - .offset:         24
        .size:           4
        .value_kind:     by_value
    .group_segment_fixed_size: 32
    .kernarg_segment_align: 8
    .kernarg_segment_size: 28
    .language:       OpenCL C
    .language_version:
      - 2
      - 0
    .max_flat_workgroup_size: 1024
    .name:           _ZN2at4cuda3cub15calc_block_sumsILi512ELi16ELb0EiiEEvPKT2_PT3_li
    .private_segment_fixed_size: 0
    .sgpr_count:     21
    .sgpr_spill_count: 0
    .symbol:         _ZN2at4cuda3cub15calc_block_sumsILi512ELi16ELb0EiiEEvPKT2_PT3_li.kd
    .uniform_work_group_size: 1
    .uses_dynamic_stack: false
    .vgpr_count:     48
    .vgpr_spill_count: 0
    .wavefront_size: 64
  - .agpr_count:     0
    .args:
      - .address_space:  global
        .offset:         0
        .size:           8
        .value_kind:     global_buffer
      - .address_space:  global
        .offset:         8
        .size:           8
        .value_kind:     global_buffer
      - .address_space:  global
        .offset:         16
        .size:           8
        .value_kind:     global_buffer
      - .offset:         24
        .size:           8
        .value_kind:     by_value
      - .offset:         32
        .size:           4
        .value_kind:     by_value
      - .offset:         40
        .size:           4
        .value_kind:     hidden_block_count_x
      - .offset:         44
        .size:           4
        .value_kind:     hidden_block_count_y
      - .offset:         48
        .size:           4
        .value_kind:     hidden_block_count_z
      - .offset:         52
        .size:           2
        .value_kind:     hidden_group_size_x
      - .offset:         54
        .size:           2
        .value_kind:     hidden_group_size_y
      - .offset:         56
        .size:           2
        .value_kind:     hidden_group_size_z
      - .offset:         58
        .size:           2
        .value_kind:     hidden_remainder_x
      - .offset:         60
        .size:           2
        .value_kind:     hidden_remainder_y
      - .offset:         62
        .size:           2
        .value_kind:     hidden_remainder_z
      - .offset:         80
        .size:           8
        .value_kind:     hidden_global_offset_x
      - .offset:         88
        .size:           8
        .value_kind:     hidden_global_offset_y
      - .offset:         96
        .size:           8
        .value_kind:     hidden_global_offset_z
      - .offset:         104
        .size:           2
        .value_kind:     hidden_grid_dims
    .group_segment_fixed_size: 33792
    .kernarg_segment_align: 8
    .kernarg_segment_size: 296
    .language:       OpenCL C
    .language_version:
      - 2
      - 0
    .max_flat_workgroup_size: 1024
    .name:           _ZN2at4cuda3cub17final_scan_kernelILi512ELi16EiEEvPKT1_PS3_S6_li
    .private_segment_fixed_size: 0
    .sgpr_count:     50
    .sgpr_spill_count: 0
    .symbol:         _ZN2at4cuda3cub17final_scan_kernelILi512ELi16EiEEvPKT1_PS3_S6_li.kd
    .uniform_work_group_size: 1
    .uses_dynamic_stack: false
    .vgpr_count:     80
    .vgpr_spill_count: 0
    .wavefront_size: 64
  - .agpr_count:     0
    .args:
      - .address_space:  global
        .offset:         0
        .size:           8
        .value_kind:     global_buffer
      - .offset:         8
        .size:           4
        .value_kind:     by_value
      - .offset:         12
        .size:           4
        .value_kind:     by_value
      - .address_space:  global
        .offset:         16
        .size:           8
        .value_kind:     global_buffer
      - .offset:         24
        .size:           4
        .value_kind:     hidden_block_count_x
      - .offset:         28
        .size:           4
        .value_kind:     hidden_block_count_y
      - .offset:         32
        .size:           4
        .value_kind:     hidden_block_count_z
      - .offset:         36
        .size:           2
        .value_kind:     hidden_group_size_x
      - .offset:         38
        .size:           2
        .value_kind:     hidden_group_size_y
      - .offset:         40
        .size:           2
        .value_kind:     hidden_group_size_z
      - .offset:         42
        .size:           2
        .value_kind:     hidden_remainder_x
      - .offset:         44
        .size:           2
        .value_kind:     hidden_remainder_y
      - .offset:         46
        .size:           2
        .value_kind:     hidden_remainder_z
      - .offset:         64
        .size:           8
        .value_kind:     hidden_global_offset_x
      - .offset:         72
        .size:           8
        .value_kind:     hidden_global_offset_y
      - .offset:         80
        .size:           8
        .value_kind:     hidden_global_offset_z
      - .offset:         88
        .size:           2
        .value_kind:     hidden_grid_dims
    .group_segment_fixed_size: 0
    .kernarg_segment_align: 8
    .kernarg_segment_size: 280
    .language:       OpenCL C
    .language_version:
      - 2
      - 0
    .max_flat_workgroup_size: 256
    .name:           _ZN7rocprim17ROCPRIM_304000_NS6detail31init_lookback_scan_state_kernelINS1_19lookback_scan_stateIiLb1ELb1EEEEEvT_jjPNS5_10value_typeE
    .private_segment_fixed_size: 0
    .sgpr_count:     18
    .sgpr_spill_count: 0
    .symbol:         _ZN7rocprim17ROCPRIM_304000_NS6detail31init_lookback_scan_state_kernelINS1_19lookback_scan_stateIiLb1ELb1EEEEEvT_jjPNS5_10value_typeE.kd
    .uniform_work_group_size: 1
    .uses_dynamic_stack: false
    .vgpr_count:     6
    .vgpr_spill_count: 0
    .wavefront_size: 64
  - .agpr_count:     0
    .args:
      - .address_space:  global
        .offset:         0
        .size:           8
        .value_kind:     global_buffer
      - .offset:         8
        .size:           4
        .value_kind:     by_value
      - .offset:         12
        .size:           4
        .value_kind:     by_value
      - .address_space:  global
        .offset:         16
        .size:           8
        .value_kind:     global_buffer
      - .offset:         24
        .size:           4
        .value_kind:     hidden_block_count_x
      - .offset:         28
        .size:           4
        .value_kind:     hidden_block_count_y
      - .offset:         32
        .size:           4
        .value_kind:     hidden_block_count_z
      - .offset:         36
        .size:           2
        .value_kind:     hidden_group_size_x
      - .offset:         38
        .size:           2
        .value_kind:     hidden_group_size_y
      - .offset:         40
        .size:           2
        .value_kind:     hidden_group_size_z
      - .offset:         42
        .size:           2
        .value_kind:     hidden_remainder_x
      - .offset:         44
        .size:           2
        .value_kind:     hidden_remainder_y
      - .offset:         46
        .size:           2
        .value_kind:     hidden_remainder_z
      - .offset:         64
        .size:           8
        .value_kind:     hidden_global_offset_x
      - .offset:         72
        .size:           8
        .value_kind:     hidden_global_offset_y
      - .offset:         80
        .size:           8
        .value_kind:     hidden_global_offset_z
      - .offset:         88
        .size:           2
        .value_kind:     hidden_grid_dims
    .group_segment_fixed_size: 0
    .kernarg_segment_align: 8
    .kernarg_segment_size: 280
    .language:       OpenCL C
    .language_version:
      - 2
      - 0
    .max_flat_workgroup_size: 256
    .name:           _ZN7rocprim17ROCPRIM_304000_NS6detail31init_lookback_scan_state_kernelINS1_19lookback_scan_stateIiLb0ELb1EEEEEvT_jjPNS5_10value_typeE
    .private_segment_fixed_size: 0
    .sgpr_count:     16
    .sgpr_spill_count: 0
    .symbol:         _ZN7rocprim17ROCPRIM_304000_NS6detail31init_lookback_scan_state_kernelINS1_19lookback_scan_stateIiLb0ELb1EEEEEvT_jjPNS5_10value_typeE.kd
    .uniform_work_group_size: 1
    .uses_dynamic_stack: false
    .vgpr_count:     6
    .vgpr_spill_count: 0
    .wavefront_size: 64
  - .agpr_count:     0
    .args:
      - .address_space:  global
        .offset:         0
        .size:           8
        .value_kind:     global_buffer
      - .address_space:  global
        .offset:         8
        .size:           8
        .value_kind:     global_buffer
      - .offset:         16
        .size:           8
        .value_kind:     by_value
      - .offset:         24
        .size:           4
        .value_kind:     by_value
      - .offset:         28
        .size:           1
        .value_kind:     by_value
      - .address_space:  global
        .offset:         32
        .size:           8
        .value_kind:     global_buffer
      - .offset:         40
        .size:           4
        .value_kind:     by_value
      - .address_space:  global
        .offset:         48
        .size:           8
        .value_kind:     global_buffer
      - .address_space:  global
        .offset:         56
        .size:           8
        .value_kind:     global_buffer
      - .offset:         64
        .size:           1
        .value_kind:     by_value
      - .offset:         65
        .size:           1
        .value_kind:     by_value
    .group_segment_fixed_size: 0
    .kernarg_segment_align: 8
    .kernarg_segment_size: 68
    .language:       OpenCL C
    .language_version:
      - 2
      - 0
    .max_flat_workgroup_size: 256
    .name:           _ZN7rocprim17ROCPRIM_304000_NS6detail20lookback_scan_kernelILNS1_25lookback_scan_determinismE0ELb0ENS1_19wrapped_scan_configINS0_14default_configEiEEPKiPiSt4plusIiEiiNS1_19lookback_scan_stateIiLb1ELb1EEEEEvT2_T3_mT5_T4_T7_jPT6_SK_bb
    .private_segment_fixed_size: 0
    .sgpr_count:     6
    .sgpr_spill_count: 0
    .symbol:         _ZN7rocprim17ROCPRIM_304000_NS6detail20lookback_scan_kernelILNS1_25lookback_scan_determinismE0ELb0ENS1_19wrapped_scan_configINS0_14default_configEiEEPKiPiSt4plusIiEiiNS1_19lookback_scan_stateIiLb1ELb1EEEEEvT2_T3_mT5_T4_T7_jPT6_SK_bb.kd
    .uniform_work_group_size: 1
    .uses_dynamic_stack: false
    .vgpr_count:     0
    .vgpr_spill_count: 0
    .wavefront_size: 64
  - .agpr_count:     0
    .args:
      - .address_space:  global
        .offset:         0
        .size:           8
        .value_kind:     global_buffer
      - .address_space:  global
        .offset:         8
        .size:           8
        .value_kind:     global_buffer
      - .offset:         16
        .size:           8
        .value_kind:     by_value
      - .offset:         24
        .size:           4
        .value_kind:     by_value
      - .offset:         28
        .size:           1
        .value_kind:     by_value
      - .address_space:  global
        .offset:         32
        .size:           8
        .value_kind:     global_buffer
      - .offset:         40
        .size:           4
        .value_kind:     by_value
      - .address_space:  global
        .offset:         48
        .size:           8
        .value_kind:     global_buffer
      - .address_space:  global
        .offset:         56
        .size:           8
        .value_kind:     global_buffer
      - .offset:         64
        .size:           1
        .value_kind:     by_value
      - .offset:         65
        .size:           1
        .value_kind:     by_value
    .group_segment_fixed_size: 14336
    .kernarg_segment_align: 8
    .kernarg_segment_size: 68
    .language:       OpenCL C
    .language_version:
      - 2
      - 0
    .max_flat_workgroup_size: 256
    .name:           _ZN7rocprim17ROCPRIM_304000_NS6detail20lookback_scan_kernelILNS1_25lookback_scan_determinismE0ELb0ENS1_19wrapped_scan_configINS0_14default_configEiEEPKiPiSt4plusIiEiiNS1_19lookback_scan_stateIiLb0ELb1EEEEEvT2_T3_mT5_T4_T7_jPT6_SK_bb
    .private_segment_fixed_size: 0
    .sgpr_count:     36
    .sgpr_spill_count: 0
    .symbol:         _ZN7rocprim17ROCPRIM_304000_NS6detail20lookback_scan_kernelILNS1_25lookback_scan_determinismE0ELb0ENS1_19wrapped_scan_configINS0_14default_configEiEEPKiPiSt4plusIiEiiNS1_19lookback_scan_stateIiLb0ELb1EEEEEvT2_T3_mT5_T4_T7_jPT6_SK_bb.kd
    .uniform_work_group_size: 1
    .uses_dynamic_stack: false
    .vgpr_count:     46
    .vgpr_spill_count: 0
    .wavefront_size: 64
  - .agpr_count:     0
    .args:
      - .address_space:  global
        .offset:         0
        .size:           8
        .value_kind:     global_buffer
      - .offset:         8
        .size:           8
        .value_kind:     by_value
      - .address_space:  global
        .offset:         16
        .size:           8
        .value_kind:     global_buffer
      - .offset:         24
        .size:           1
        .value_kind:     by_value
      - .offset:         32
        .size:           4
        .value_kind:     hidden_block_count_x
      - .offset:         36
        .size:           4
        .value_kind:     hidden_block_count_y
      - .offset:         40
        .size:           4
        .value_kind:     hidden_block_count_z
      - .offset:         44
        .size:           2
        .value_kind:     hidden_group_size_x
      - .offset:         46
        .size:           2
        .value_kind:     hidden_group_size_y
      - .offset:         48
        .size:           2
        .value_kind:     hidden_group_size_z
      - .offset:         50
        .size:           2
        .value_kind:     hidden_remainder_x
      - .offset:         52
        .size:           2
        .value_kind:     hidden_remainder_y
      - .offset:         54
        .size:           2
        .value_kind:     hidden_remainder_z
      - .offset:         72
        .size:           8
        .value_kind:     hidden_global_offset_x
      - .offset:         80
        .size:           8
        .value_kind:     hidden_global_offset_y
      - .offset:         88
        .size:           8
        .value_kind:     hidden_global_offset_z
      - .offset:         96
        .size:           2
        .value_kind:     hidden_grid_dims
    .group_segment_fixed_size: 0
    .kernarg_segment_align: 8
    .kernarg_segment_size: 288
    .language:       OpenCL C
    .language_version:
      - 2
      - 0
    .max_flat_workgroup_size: 128
    .name:           _ZN7rocprim17ROCPRIM_304000_NS6detail16transform_kernelINS1_24wrapped_transform_configINS0_14default_configEiEEiPiS6_NS0_8identityIiEEEEvT1_mT2_T3_
    .private_segment_fixed_size: 0
    .sgpr_count:     18
    .sgpr_spill_count: 0
    .symbol:         _ZN7rocprim17ROCPRIM_304000_NS6detail16transform_kernelINS1_24wrapped_transform_configINS0_14default_configEiEEiPiS6_NS0_8identityIiEEEEvT1_mT2_T3_.kd
    .uniform_work_group_size: 1
    .uses_dynamic_stack: false
    .vgpr_count:     10
    .vgpr_spill_count: 0
    .wavefront_size: 64
  - .agpr_count:     0
    .args:
      - .address_space:  global
        .offset:         0
        .size:           8
        .value_kind:     global_buffer
      - .offset:         8
        .size:           8
        .value_kind:     by_value
      - .offset:         16
        .size:           4
        .value_kind:     by_value
      - .address_space:  global
        .offset:         24
        .size:           8
        .value_kind:     global_buffer
      - .offset:         32
        .size:           1
        .value_kind:     by_value
    .group_segment_fixed_size: 14336
    .kernarg_segment_align: 8
    .kernarg_segment_size: 36
    .language:       OpenCL C
    .language_version:
      - 2
      - 0
    .max_flat_workgroup_size: 256
    .name:           _ZN7rocprim17ROCPRIM_304000_NS6detail18single_scan_kernelILb0ENS1_19wrapped_scan_configINS0_14default_configEiEEPKiPiSt4plusIiEiiEEvT1_mT4_T2_T3_
    .private_segment_fixed_size: 0
    .sgpr_count:     38
    .sgpr_spill_count: 0
    .symbol:         _ZN7rocprim17ROCPRIM_304000_NS6detail18single_scan_kernelILb0ENS1_19wrapped_scan_configINS0_14default_configEiEEPKiPiSt4plusIiEiiEEvT1_mT4_T2_T3_.kd
    .uniform_work_group_size: 1
    .uses_dynamic_stack: false
    .vgpr_count:     22
    .vgpr_spill_count: 0
    .wavefront_size: 64
  - .agpr_count:     0
    .args:
      - .address_space:  global
        .offset:         0
        .size:           8
        .value_kind:     global_buffer
      - .address_space:  global
        .offset:         8
        .size:           8
        .value_kind:     global_buffer
      - .offset:         16
        .size:           4
        .value_kind:     by_value
      - .offset:         20
        .size:           4
        .value_kind:     by_value
      - .offset:         24
        .size:           4
        .value_kind:     by_value
      - .offset:         28
        .size:           4
        .value_kind:     by_value
      - .offset:         32
        .size:           1
        .value_kind:     by_value
      - .offset:         40
        .size:           4
        .value_kind:     hidden_block_count_x
      - .offset:         44
        .size:           4
        .value_kind:     hidden_block_count_y
      - .offset:         48
        .size:           4
        .value_kind:     hidden_block_count_z
      - .offset:         52
        .size:           2
        .value_kind:     hidden_group_size_x
      - .offset:         54
        .size:           2
        .value_kind:     hidden_group_size_y
      - .offset:         56
        .size:           2
        .value_kind:     hidden_group_size_z
      - .offset:         58
        .size:           2
        .value_kind:     hidden_remainder_x
      - .offset:         60
        .size:           2
        .value_kind:     hidden_remainder_y
      - .offset:         62
        .size:           2
        .value_kind:     hidden_remainder_z
      - .offset:         80
        .size:           8
        .value_kind:     hidden_global_offset_x
      - .offset:         88
        .size:           8
        .value_kind:     hidden_global_offset_y
      - .offset:         96
        .size:           8
        .value_kind:     hidden_global_offset_z
      - .offset:         104
        .size:           2
        .value_kind:     hidden_grid_dims
      - .offset:         160
        .size:           4
        .value_kind:     hidden_dynamic_lds_size
    .group_segment_fixed_size: 0
    .kernarg_segment_align: 8
    .kernarg_segment_size: 296
    .language:       OpenCL C
    .language_version:
      - 2
      - 0
    .max_flat_workgroup_size: 1024
    .name:           _ZN2at6native32tensor_kernel_scan_innermost_dimIiSt4plusIiEEEvPT_PKS4_jjjS4_T0_
    .private_segment_fixed_size: 0
    .sgpr_count:     40
    .sgpr_spill_count: 0
    .symbol:         _ZN2at6native32tensor_kernel_scan_innermost_dimIiSt4plusIiEEEvPT_PKS4_jjjS4_T0_.kd
    .uniform_work_group_size: 1
    .uses_dynamic_stack: false
    .vgpr_count:     24
    .vgpr_spill_count: 0
    .wavefront_size: 64
  - .agpr_count:     0
    .args:
      - .address_space:  global
        .offset:         0
        .size:           8
        .value_kind:     global_buffer
      - .address_space:  global
        .offset:         8
        .size:           8
        .value_kind:     global_buffer
      - .offset:         16
        .size:           4
        .value_kind:     by_value
      - .offset:         20
        .size:           4
        .value_kind:     by_value
      - .offset:         24
        .size:           4
        .value_kind:     by_value
      - .offset:         28
        .size:           4
        .value_kind:     by_value
      - .offset:         32
        .size:           1
        .value_kind:     by_value
      - .offset:         40
        .size:           4
        .value_kind:     hidden_block_count_x
      - .offset:         44
        .size:           4
        .value_kind:     hidden_block_count_y
      - .offset:         48
        .size:           4
        .value_kind:     hidden_block_count_z
      - .offset:         52
        .size:           2
        .value_kind:     hidden_group_size_x
      - .offset:         54
        .size:           2
        .value_kind:     hidden_group_size_y
      - .offset:         56
        .size:           2
        .value_kind:     hidden_group_size_z
      - .offset:         58
        .size:           2
        .value_kind:     hidden_remainder_x
      - .offset:         60
        .size:           2
        .value_kind:     hidden_remainder_y
      - .offset:         62
        .size:           2
        .value_kind:     hidden_remainder_z
      - .offset:         80
        .size:           8
        .value_kind:     hidden_global_offset_x
      - .offset:         88
        .size:           8
        .value_kind:     hidden_global_offset_y
      - .offset:         96
        .size:           8
        .value_kind:     hidden_global_offset_z
      - .offset:         104
        .size:           2
        .value_kind:     hidden_grid_dims
    .group_segment_fixed_size: 0
    .kernarg_segment_align: 8
    .kernarg_segment_size: 296
    .language:       OpenCL C
    .language_version:
      - 2
      - 0
    .max_flat_workgroup_size: 1024
    .name:           _ZN2at6native28tensor_kernel_scan_outer_dimIijSt4plusIiEEEvPT_PKS4_jjjS4_T1_
    .private_segment_fixed_size: 0
    .sgpr_count:     36
    .sgpr_spill_count: 0
    .symbol:         _ZN2at6native28tensor_kernel_scan_outer_dimIijSt4plusIiEEEvPT_PKS4_jjjS4_T1_.kd
    .uniform_work_group_size: 1
    .uses_dynamic_stack: false
    .vgpr_count:     9
    .vgpr_spill_count: 0
    .wavefront_size: 64
  - .agpr_count:     0
    .args:
      - .address_space:  global
        .offset:         0
        .size:           8
        .value_kind:     global_buffer
      - .address_space:  global
        .offset:         8
        .size:           8
        .value_kind:     global_buffer
      - .offset:         16
        .size:           4
        .value_kind:     by_value
      - .offset:         20
        .size:           4
        .value_kind:     by_value
      - .offset:         24
        .size:           4
        .value_kind:     by_value
      - .offset:         28
        .size:           4
        .value_kind:     by_value
      - .offset:         32
        .size:           1
        .value_kind:     by_value
      - .offset:         40
        .size:           4
        .value_kind:     hidden_block_count_x
      - .offset:         44
        .size:           4
        .value_kind:     hidden_block_count_y
      - .offset:         48
        .size:           4
        .value_kind:     hidden_block_count_z
      - .offset:         52
        .size:           2
        .value_kind:     hidden_group_size_x
      - .offset:         54
        .size:           2
        .value_kind:     hidden_group_size_y
      - .offset:         56
        .size:           2
        .value_kind:     hidden_group_size_z
      - .offset:         58
        .size:           2
        .value_kind:     hidden_remainder_x
      - .offset:         60
        .size:           2
        .value_kind:     hidden_remainder_y
      - .offset:         62
        .size:           2
        .value_kind:     hidden_remainder_z
      - .offset:         80
        .size:           8
        .value_kind:     hidden_global_offset_x
      - .offset:         88
        .size:           8
        .value_kind:     hidden_global_offset_y
      - .offset:         96
        .size:           8
        .value_kind:     hidden_global_offset_z
      - .offset:         104
        .size:           2
        .value_kind:     hidden_grid_dims
    .group_segment_fixed_size: 0
    .kernarg_segment_align: 8
    .kernarg_segment_size: 296
    .language:       OpenCL C
    .language_version:
      - 2
      - 0
    .max_flat_workgroup_size: 1024
    .name:           _ZN2at6native28tensor_kernel_scan_outer_dimIimSt4plusIiEEEvPT_PKS4_jjjS4_T1_
    .private_segment_fixed_size: 0
    .sgpr_count:     35
    .sgpr_spill_count: 0
    .symbol:         _ZN2at6native28tensor_kernel_scan_outer_dimIimSt4plusIiEEEvPT_PKS4_jjjS4_T1_.kd
    .uniform_work_group_size: 1
    .uses_dynamic_stack: false
    .vgpr_count:     9
    .vgpr_spill_count: 0
    .wavefront_size: 64
  - .agpr_count:     0
    .args:
      - .address_space:  global
        .offset:         0
        .size:           8
        .value_kind:     global_buffer
      - .address_space:  global
        .offset:         8
        .size:           8
        .value_kind:     global_buffer
      - .offset:         16
        .size:           8
        .value_kind:     by_value
      - .offset:         24
        .size:           4
        .value_kind:     by_value
    .group_segment_fixed_size: 32
    .kernarg_segment_align: 8
    .kernarg_segment_size: 28
    .language:       OpenCL C
    .language_version:
      - 2
      - 0
    .max_flat_workgroup_size: 1024
    .name:           _ZN2at4cuda3cub15calc_block_sumsILi256ELi16ELb0EllEEvPKT2_PT3_li
    .private_segment_fixed_size: 0
    .sgpr_count:     21
    .sgpr_spill_count: 0
    .symbol:         _ZN2at4cuda3cub15calc_block_sumsILi256ELi16ELb0EllEEvPKT2_PT3_li.kd
    .uniform_work_group_size: 1
    .uses_dynamic_stack: false
    .vgpr_count:     50
    .vgpr_spill_count: 0
    .wavefront_size: 64
  - .agpr_count:     0
    .args:
      - .address_space:  global
        .offset:         0
        .size:           8
        .value_kind:     global_buffer
      - .address_space:  global
        .offset:         8
        .size:           8
        .value_kind:     global_buffer
      - .address_space:  global
        .offset:         16
        .size:           8
        .value_kind:     global_buffer
      - .offset:         24
        .size:           8
        .value_kind:     by_value
      - .offset:         32
        .size:           4
        .value_kind:     by_value
      - .offset:         40
        .size:           4
        .value_kind:     hidden_block_count_x
      - .offset:         44
        .size:           4
        .value_kind:     hidden_block_count_y
      - .offset:         48
        .size:           4
        .value_kind:     hidden_block_count_z
      - .offset:         52
        .size:           2
        .value_kind:     hidden_group_size_x
      - .offset:         54
        .size:           2
        .value_kind:     hidden_group_size_y
      - .offset:         56
        .size:           2
        .value_kind:     hidden_group_size_z
      - .offset:         58
        .size:           2
        .value_kind:     hidden_remainder_x
      - .offset:         60
        .size:           2
        .value_kind:     hidden_remainder_y
      - .offset:         62
        .size:           2
        .value_kind:     hidden_remainder_z
      - .offset:         80
        .size:           8
        .value_kind:     hidden_global_offset_x
      - .offset:         88
        .size:           8
        .value_kind:     hidden_global_offset_y
      - .offset:         96
        .size:           8
        .value_kind:     hidden_global_offset_z
      - .offset:         104
        .size:           2
        .value_kind:     hidden_grid_dims
    .group_segment_fixed_size: 33792
    .kernarg_segment_align: 8
    .kernarg_segment_size: 296
    .language:       OpenCL C
    .language_version:
      - 2
      - 0
    .max_flat_workgroup_size: 1024
    .name:           _ZN2at4cuda3cub17final_scan_kernelILi256ELi16ElEEvPKT1_PS3_S6_li
    .private_segment_fixed_size: 0
    .sgpr_count:     50
    .sgpr_spill_count: 0
    .symbol:         _ZN2at4cuda3cub17final_scan_kernelILi256ELi16ElEEvPKT1_PS3_S6_li.kd
    .uniform_work_group_size: 1
    .uses_dynamic_stack: false
    .vgpr_count:     119
    .vgpr_spill_count: 0
    .wavefront_size: 64
  - .agpr_count:     0
    .args:
      - .address_space:  global
        .offset:         0
        .size:           8
        .value_kind:     global_buffer
      - .offset:         8
        .size:           4
        .value_kind:     by_value
      - .offset:         12
        .size:           4
        .value_kind:     by_value
      - .address_space:  global
        .offset:         16
        .size:           8
        .value_kind:     global_buffer
      - .offset:         24
        .size:           4
        .value_kind:     hidden_block_count_x
      - .offset:         28
        .size:           4
        .value_kind:     hidden_block_count_y
      - .offset:         32
        .size:           4
        .value_kind:     hidden_block_count_z
      - .offset:         36
        .size:           2
        .value_kind:     hidden_group_size_x
      - .offset:         38
        .size:           2
        .value_kind:     hidden_group_size_y
      - .offset:         40
        .size:           2
        .value_kind:     hidden_group_size_z
      - .offset:         42
        .size:           2
        .value_kind:     hidden_remainder_x
      - .offset:         44
        .size:           2
        .value_kind:     hidden_remainder_y
      - .offset:         46
        .size:           2
        .value_kind:     hidden_remainder_z
      - .offset:         64
        .size:           8
        .value_kind:     hidden_global_offset_x
      - .offset:         72
        .size:           8
        .value_kind:     hidden_global_offset_y
      - .offset:         80
        .size:           8
        .value_kind:     hidden_global_offset_z
      - .offset:         88
        .size:           2
        .value_kind:     hidden_grid_dims
    .group_segment_fixed_size: 0
    .kernarg_segment_align: 8
    .kernarg_segment_size: 280
    .language:       OpenCL C
    .language_version:
      - 2
      - 0
    .max_flat_workgroup_size: 256
    .name:           _ZN7rocprim17ROCPRIM_304000_NS6detail31init_lookback_scan_state_kernelINS1_19lookback_scan_stateIlLb1ELb1EEEEEvT_jjPNS5_10value_typeE
    .private_segment_fixed_size: 0
    .sgpr_count:     20
    .sgpr_spill_count: 0
    .symbol:         _ZN7rocprim17ROCPRIM_304000_NS6detail31init_lookback_scan_state_kernelINS1_19lookback_scan_stateIlLb1ELb1EEEEEvT_jjPNS5_10value_typeE.kd
    .uniform_work_group_size: 1
    .uses_dynamic_stack: false
    .vgpr_count:     10
    .vgpr_spill_count: 0
    .wavefront_size: 64
  - .agpr_count:     0
    .args:
      - .address_space:  global
        .offset:         0
        .size:           8
        .value_kind:     global_buffer
      - .offset:         8
        .size:           4
        .value_kind:     by_value
      - .offset:         12
        .size:           4
        .value_kind:     by_value
      - .address_space:  global
        .offset:         16
        .size:           8
        .value_kind:     global_buffer
      - .offset:         24
        .size:           4
        .value_kind:     hidden_block_count_x
      - .offset:         28
        .size:           4
        .value_kind:     hidden_block_count_y
      - .offset:         32
        .size:           4
        .value_kind:     hidden_block_count_z
      - .offset:         36
        .size:           2
        .value_kind:     hidden_group_size_x
      - .offset:         38
        .size:           2
        .value_kind:     hidden_group_size_y
      - .offset:         40
        .size:           2
        .value_kind:     hidden_group_size_z
      - .offset:         42
        .size:           2
        .value_kind:     hidden_remainder_x
      - .offset:         44
        .size:           2
        .value_kind:     hidden_remainder_y
      - .offset:         46
        .size:           2
        .value_kind:     hidden_remainder_z
      - .offset:         64
        .size:           8
        .value_kind:     hidden_global_offset_x
      - .offset:         72
        .size:           8
        .value_kind:     hidden_global_offset_y
      - .offset:         80
        .size:           8
        .value_kind:     hidden_global_offset_z
      - .offset:         88
        .size:           2
        .value_kind:     hidden_grid_dims
    .group_segment_fixed_size: 0
    .kernarg_segment_align: 8
    .kernarg_segment_size: 280
    .language:       OpenCL C
    .language_version:
      - 2
      - 0
    .max_flat_workgroup_size: 256
    .name:           _ZN7rocprim17ROCPRIM_304000_NS6detail31init_lookback_scan_state_kernelINS1_19lookback_scan_stateIlLb0ELb1EEEEEvT_jjPNS5_10value_typeE
    .private_segment_fixed_size: 0
    .sgpr_count:     20
    .sgpr_spill_count: 0
    .symbol:         _ZN7rocprim17ROCPRIM_304000_NS6detail31init_lookback_scan_state_kernelINS1_19lookback_scan_stateIlLb0ELb1EEEEEvT_jjPNS5_10value_typeE.kd
    .uniform_work_group_size: 1
    .uses_dynamic_stack: false
    .vgpr_count:     10
    .vgpr_spill_count: 0
    .wavefront_size: 64
  - .agpr_count:     0
    .args:
      - .address_space:  global
        .offset:         0
        .size:           8
        .value_kind:     global_buffer
      - .address_space:  global
        .offset:         8
        .size:           8
        .value_kind:     global_buffer
      - .offset:         16
        .size:           8
        .value_kind:     by_value
      - .offset:         24
        .size:           8
        .value_kind:     by_value
      - .offset:         32
        .size:           1
        .value_kind:     by_value
      - .address_space:  global
        .offset:         40
        .size:           8
        .value_kind:     global_buffer
      - .offset:         48
        .size:           4
        .value_kind:     by_value
      - .address_space:  global
        .offset:         56
        .size:           8
        .value_kind:     global_buffer
      - .address_space:  global
        .offset:         64
        .size:           8
        .value_kind:     global_buffer
      - .offset:         72
        .size:           1
        .value_kind:     by_value
      - .offset:         73
        .size:           1
        .value_kind:     by_value
    .group_segment_fixed_size: 0
    .kernarg_segment_align: 8
    .kernarg_segment_size: 76
    .language:       OpenCL C
    .language_version:
      - 2
      - 0
    .max_flat_workgroup_size: 256
    .name:           _ZN7rocprim17ROCPRIM_304000_NS6detail20lookback_scan_kernelILNS1_25lookback_scan_determinismE0ELb0ENS1_19wrapped_scan_configINS0_14default_configElEEPKlPlSt4plusIlEllNS1_19lookback_scan_stateIlLb1ELb1EEEEEvT2_T3_mT5_T4_T7_jPT6_SK_bb
    .private_segment_fixed_size: 0
    .sgpr_count:     6
    .sgpr_spill_count: 0
    .symbol:         _ZN7rocprim17ROCPRIM_304000_NS6detail20lookback_scan_kernelILNS1_25lookback_scan_determinismE0ELb0ENS1_19wrapped_scan_configINS0_14default_configElEEPKlPlSt4plusIlEllNS1_19lookback_scan_stateIlLb1ELb1EEEEEvT2_T3_mT5_T4_T7_jPT6_SK_bb.kd
    .uniform_work_group_size: 1
    .uses_dynamic_stack: false
    .vgpr_count:     0
    .vgpr_spill_count: 0
    .wavefront_size: 64
  - .agpr_count:     0
    .args:
      - .address_space:  global
        .offset:         0
        .size:           8
        .value_kind:     global_buffer
      - .address_space:  global
        .offset:         8
        .size:           8
        .value_kind:     global_buffer
      - .offset:         16
        .size:           8
        .value_kind:     by_value
      - .offset:         24
        .size:           8
        .value_kind:     by_value
      - .offset:         32
        .size:           1
        .value_kind:     by_value
      - .address_space:  global
        .offset:         40
        .size:           8
        .value_kind:     global_buffer
      - .offset:         48
        .size:           4
        .value_kind:     by_value
      - .address_space:  global
        .offset:         56
        .size:           8
        .value_kind:     global_buffer
      - .address_space:  global
        .offset:         64
        .size:           8
        .value_kind:     global_buffer
      - .offset:         72
        .size:           1
        .value_kind:     by_value
      - .offset:         73
        .size:           1
        .value_kind:     by_value
    .group_segment_fixed_size: 12288
    .kernarg_segment_align: 8
    .kernarg_segment_size: 76
    .language:       OpenCL C
    .language_version:
      - 2
      - 0
    .max_flat_workgroup_size: 256
    .name:           _ZN7rocprim17ROCPRIM_304000_NS6detail20lookback_scan_kernelILNS1_25lookback_scan_determinismE0ELb0ENS1_19wrapped_scan_configINS0_14default_configElEEPKlPlSt4plusIlEllNS1_19lookback_scan_stateIlLb0ELb1EEEEEvT2_T3_mT5_T4_T7_jPT6_SK_bb
    .private_segment_fixed_size: 0
    .sgpr_count:     36
    .sgpr_spill_count: 0
    .symbol:         _ZN7rocprim17ROCPRIM_304000_NS6detail20lookback_scan_kernelILNS1_25lookback_scan_determinismE0ELb0ENS1_19wrapped_scan_configINS0_14default_configElEEPKlPlSt4plusIlEllNS1_19lookback_scan_stateIlLb0ELb1EEEEEvT2_T3_mT5_T4_T7_jPT6_SK_bb.kd
    .uniform_work_group_size: 1
    .uses_dynamic_stack: false
    .vgpr_count:     52
    .vgpr_spill_count: 0
    .wavefront_size: 64
  - .agpr_count:     0
    .args:
      - .address_space:  global
        .offset:         0
        .size:           8
        .value_kind:     global_buffer
      - .offset:         8
        .size:           8
        .value_kind:     by_value
      - .address_space:  global
        .offset:         16
        .size:           8
        .value_kind:     global_buffer
      - .offset:         24
        .size:           1
        .value_kind:     by_value
      - .offset:         32
        .size:           4
        .value_kind:     hidden_block_count_x
      - .offset:         36
        .size:           4
        .value_kind:     hidden_block_count_y
      - .offset:         40
        .size:           4
        .value_kind:     hidden_block_count_z
      - .offset:         44
        .size:           2
        .value_kind:     hidden_group_size_x
      - .offset:         46
        .size:           2
        .value_kind:     hidden_group_size_y
      - .offset:         48
        .size:           2
        .value_kind:     hidden_group_size_z
      - .offset:         50
        .size:           2
        .value_kind:     hidden_remainder_x
      - .offset:         52
        .size:           2
        .value_kind:     hidden_remainder_y
      - .offset:         54
        .size:           2
        .value_kind:     hidden_remainder_z
      - .offset:         72
        .size:           8
        .value_kind:     hidden_global_offset_x
      - .offset:         80
        .size:           8
        .value_kind:     hidden_global_offset_y
      - .offset:         88
        .size:           8
        .value_kind:     hidden_global_offset_z
      - .offset:         96
        .size:           2
        .value_kind:     hidden_grid_dims
    .group_segment_fixed_size: 0
    .kernarg_segment_align: 8
    .kernarg_segment_size: 288
    .language:       OpenCL C
    .language_version:
      - 2
      - 0
    .max_flat_workgroup_size: 128
    .name:           _ZN7rocprim17ROCPRIM_304000_NS6detail16transform_kernelINS1_24wrapped_transform_configINS0_14default_configElEElPlS6_NS0_8identityIlEEEEvT1_mT2_T3_
    .private_segment_fixed_size: 0
    .sgpr_count:     16
    .sgpr_spill_count: 0
    .symbol:         _ZN7rocprim17ROCPRIM_304000_NS6detail16transform_kernelINS1_24wrapped_transform_configINS0_14default_configElEElPlS6_NS0_8identityIlEEEEvT1_mT2_T3_.kd
    .uniform_work_group_size: 1
    .uses_dynamic_stack: false
    .vgpr_count:     3
    .vgpr_spill_count: 0
    .wavefront_size: 64
  - .agpr_count:     0
    .args:
      - .address_space:  global
        .offset:         0
        .size:           8
        .value_kind:     global_buffer
      - .offset:         8
        .size:           8
        .value_kind:     by_value
      - .offset:         16
        .size:           8
        .value_kind:     by_value
      - .address_space:  global
        .offset:         24
        .size:           8
        .value_kind:     global_buffer
      - .offset:         32
        .size:           1
        .value_kind:     by_value
    .group_segment_fixed_size: 12288
    .kernarg_segment_align: 8
    .kernarg_segment_size: 36
    .language:       OpenCL C
    .language_version:
      - 2
      - 0
    .max_flat_workgroup_size: 256
    .name:           _ZN7rocprim17ROCPRIM_304000_NS6detail18single_scan_kernelILb0ENS1_19wrapped_scan_configINS0_14default_configElEEPKlPlSt4plusIlEllEEvT1_mT4_T2_T3_
    .private_segment_fixed_size: 0
    .sgpr_count:     26
    .sgpr_spill_count: 0
    .symbol:         _ZN7rocprim17ROCPRIM_304000_NS6detail18single_scan_kernelILb0ENS1_19wrapped_scan_configINS0_14default_configElEEPKlPlSt4plusIlEllEEvT1_mT4_T2_T3_.kd
    .uniform_work_group_size: 1
    .uses_dynamic_stack: false
    .vgpr_count:     25
    .vgpr_spill_count: 0
    .wavefront_size: 64
  - .agpr_count:     0
    .args:
      - .address_space:  global
        .offset:         0
        .size:           8
        .value_kind:     global_buffer
      - .address_space:  global
        .offset:         8
        .size:           8
        .value_kind:     global_buffer
      - .offset:         16
        .size:           4
        .value_kind:     by_value
      - .offset:         20
        .size:           4
        .value_kind:     by_value
      - .offset:         24
        .size:           4
        .value_kind:     by_value
      - .offset:         32
        .size:           8
        .value_kind:     by_value
      - .offset:         40
        .size:           1
        .value_kind:     by_value
      - .offset:         48
        .size:           4
        .value_kind:     hidden_block_count_x
      - .offset:         52
        .size:           4
        .value_kind:     hidden_block_count_y
      - .offset:         56
        .size:           4
        .value_kind:     hidden_block_count_z
      - .offset:         60
        .size:           2
        .value_kind:     hidden_group_size_x
      - .offset:         62
        .size:           2
        .value_kind:     hidden_group_size_y
      - .offset:         64
        .size:           2
        .value_kind:     hidden_group_size_z
      - .offset:         66
        .size:           2
        .value_kind:     hidden_remainder_x
      - .offset:         68
        .size:           2
        .value_kind:     hidden_remainder_y
      - .offset:         70
        .size:           2
        .value_kind:     hidden_remainder_z
      - .offset:         88
        .size:           8
        .value_kind:     hidden_global_offset_x
      - .offset:         96
        .size:           8
        .value_kind:     hidden_global_offset_y
      - .offset:         104
        .size:           8
        .value_kind:     hidden_global_offset_z
      - .offset:         112
        .size:           2
        .value_kind:     hidden_grid_dims
      - .offset:         168
        .size:           4
        .value_kind:     hidden_dynamic_lds_size
    .group_segment_fixed_size: 0
    .kernarg_segment_align: 8
    .kernarg_segment_size: 304
    .language:       OpenCL C
    .language_version:
      - 2
      - 0
    .max_flat_workgroup_size: 1024
    .name:           _ZN2at6native32tensor_kernel_scan_innermost_dimIlSt4plusIlEEEvPT_PKS4_jjjS4_T0_
    .private_segment_fixed_size: 0
    .sgpr_count:     41
    .sgpr_spill_count: 0
    .symbol:         _ZN2at6native32tensor_kernel_scan_innermost_dimIlSt4plusIlEEEvPT_PKS4_jjjS4_T0_.kd
    .uniform_work_group_size: 1
    .uses_dynamic_stack: false
    .vgpr_count:     24
    .vgpr_spill_count: 0
    .wavefront_size: 64
  - .agpr_count:     0
    .args:
      - .address_space:  global
        .offset:         0
        .size:           8
        .value_kind:     global_buffer
      - .address_space:  global
        .offset:         8
        .size:           8
        .value_kind:     global_buffer
      - .offset:         16
        .size:           4
        .value_kind:     by_value
      - .offset:         20
        .size:           4
        .value_kind:     by_value
      - .offset:         24
        .size:           4
        .value_kind:     by_value
      - .offset:         32
        .size:           8
        .value_kind:     by_value
      - .offset:         40
        .size:           1
        .value_kind:     by_value
      - .offset:         48
        .size:           4
        .value_kind:     hidden_block_count_x
      - .offset:         52
        .size:           4
        .value_kind:     hidden_block_count_y
      - .offset:         56
        .size:           4
        .value_kind:     hidden_block_count_z
      - .offset:         60
        .size:           2
        .value_kind:     hidden_group_size_x
      - .offset:         62
        .size:           2
        .value_kind:     hidden_group_size_y
      - .offset:         64
        .size:           2
        .value_kind:     hidden_group_size_z
      - .offset:         66
        .size:           2
        .value_kind:     hidden_remainder_x
      - .offset:         68
        .size:           2
        .value_kind:     hidden_remainder_y
      - .offset:         70
        .size:           2
        .value_kind:     hidden_remainder_z
      - .offset:         88
        .size:           8
        .value_kind:     hidden_global_offset_x
      - .offset:         96
        .size:           8
        .value_kind:     hidden_global_offset_y
      - .offset:         104
        .size:           8
        .value_kind:     hidden_global_offset_z
      - .offset:         112
        .size:           2
        .value_kind:     hidden_grid_dims
    .group_segment_fixed_size: 0
    .kernarg_segment_align: 8
    .kernarg_segment_size: 304
    .language:       OpenCL C
    .language_version:
      - 2
      - 0
    .max_flat_workgroup_size: 1024
    .name:           _ZN2at6native28tensor_kernel_scan_outer_dimIljSt4plusIlEEEvPT_PKS4_jjjS4_T1_
    .private_segment_fixed_size: 0
    .sgpr_count:     37
    .sgpr_spill_count: 0
    .symbol:         _ZN2at6native28tensor_kernel_scan_outer_dimIljSt4plusIlEEEvPT_PKS4_jjjS4_T1_.kd
    .uniform_work_group_size: 1
    .uses_dynamic_stack: false
    .vgpr_count:     12
    .vgpr_spill_count: 0
    .wavefront_size: 64
  - .agpr_count:     0
    .args:
      - .address_space:  global
        .offset:         0
        .size:           8
        .value_kind:     global_buffer
      - .address_space:  global
        .offset:         8
        .size:           8
        .value_kind:     global_buffer
      - .offset:         16
        .size:           4
        .value_kind:     by_value
      - .offset:         20
        .size:           4
        .value_kind:     by_value
      - .offset:         24
        .size:           4
        .value_kind:     by_value
      - .offset:         32
        .size:           8
        .value_kind:     by_value
      - .offset:         40
        .size:           1
        .value_kind:     by_value
      - .offset:         48
        .size:           4
        .value_kind:     hidden_block_count_x
      - .offset:         52
        .size:           4
        .value_kind:     hidden_block_count_y
      - .offset:         56
        .size:           4
        .value_kind:     hidden_block_count_z
      - .offset:         60
        .size:           2
        .value_kind:     hidden_group_size_x
      - .offset:         62
        .size:           2
        .value_kind:     hidden_group_size_y
      - .offset:         64
        .size:           2
        .value_kind:     hidden_group_size_z
      - .offset:         66
        .size:           2
        .value_kind:     hidden_remainder_x
      - .offset:         68
        .size:           2
        .value_kind:     hidden_remainder_y
      - .offset:         70
        .size:           2
        .value_kind:     hidden_remainder_z
      - .offset:         88
        .size:           8
        .value_kind:     hidden_global_offset_x
      - .offset:         96
        .size:           8
        .value_kind:     hidden_global_offset_y
      - .offset:         104
        .size:           8
        .value_kind:     hidden_global_offset_z
      - .offset:         112
        .size:           2
        .value_kind:     hidden_grid_dims
    .group_segment_fixed_size: 0
    .kernarg_segment_align: 8
    .kernarg_segment_size: 304
    .language:       OpenCL C
    .language_version:
      - 2
      - 0
    .max_flat_workgroup_size: 1024
    .name:           _ZN2at6native28tensor_kernel_scan_outer_dimIlmSt4plusIlEEEvPT_PKS4_jjjS4_T1_
    .private_segment_fixed_size: 0
    .sgpr_count:     36
    .sgpr_spill_count: 0
    .symbol:         _ZN2at6native28tensor_kernel_scan_outer_dimIlmSt4plusIlEEEvPT_PKS4_jjjS4_T1_.kd
    .uniform_work_group_size: 1
    .uses_dynamic_stack: false
    .vgpr_count:     12
    .vgpr_spill_count: 0
    .wavefront_size: 64
  - .agpr_count:     0
    .args:
      - .address_space:  global
        .offset:         0
        .size:           8
        .value_kind:     global_buffer
      - .address_space:  global
        .offset:         8
        .size:           8
        .value_kind:     global_buffer
      - .offset:         16
        .size:           8
        .value_kind:     by_value
      - .offset:         24
        .size:           4
        .value_kind:     by_value
    .group_segment_fixed_size: 16
    .kernarg_segment_align: 8
    .kernarg_segment_size: 28
    .language:       OpenCL C
    .language_version:
      - 2
      - 0
    .max_flat_workgroup_size: 1024
    .name:           _ZN2at4cuda3cub15calc_block_sumsILi512ELi16ELb0EssEEvPKT2_PT3_li
    .private_segment_fixed_size: 0
    .sgpr_count:     24
    .sgpr_spill_count: 0
    .symbol:         _ZN2at4cuda3cub15calc_block_sumsILi512ELi16ELb0EssEEvPKT2_PT3_li.kd
    .uniform_work_group_size: 1
    .uses_dynamic_stack: false
    .vgpr_count:     44
    .vgpr_spill_count: 0
    .wavefront_size: 64
  - .agpr_count:     0
    .args:
      - .address_space:  global
        .offset:         0
        .size:           8
        .value_kind:     global_buffer
      - .address_space:  global
        .offset:         8
        .size:           8
        .value_kind:     global_buffer
      - .address_space:  global
        .offset:         16
        .size:           8
        .value_kind:     global_buffer
      - .offset:         24
        .size:           8
        .value_kind:     by_value
      - .offset:         32
        .size:           4
        .value_kind:     by_value
      - .offset:         40
        .size:           4
        .value_kind:     hidden_block_count_x
      - .offset:         44
        .size:           4
        .value_kind:     hidden_block_count_y
      - .offset:         48
        .size:           4
        .value_kind:     hidden_block_count_z
      - .offset:         52
        .size:           2
        .value_kind:     hidden_group_size_x
      - .offset:         54
        .size:           2
        .value_kind:     hidden_group_size_y
      - .offset:         56
        .size:           2
        .value_kind:     hidden_group_size_z
      - .offset:         58
        .size:           2
        .value_kind:     hidden_remainder_x
      - .offset:         60
        .size:           2
        .value_kind:     hidden_remainder_y
      - .offset:         62
        .size:           2
        .value_kind:     hidden_remainder_z
      - .offset:         80
        .size:           8
        .value_kind:     hidden_global_offset_x
      - .offset:         88
        .size:           8
        .value_kind:     hidden_global_offset_y
      - .offset:         96
        .size:           8
        .value_kind:     hidden_global_offset_z
      - .offset:         104
        .size:           2
        .value_kind:     hidden_grid_dims
    .group_segment_fixed_size: 16896
    .kernarg_segment_align: 8
    .kernarg_segment_size: 296
    .language:       OpenCL C
    .language_version:
      - 2
      - 0
    .max_flat_workgroup_size: 1024
    .name:           _ZN2at4cuda3cub17final_scan_kernelILi512ELi16EsEEvPKT1_PS3_S6_li
    .private_segment_fixed_size: 0
    .sgpr_count:     52
    .sgpr_spill_count: 0
    .symbol:         _ZN2at4cuda3cub17final_scan_kernelILi512ELi16EsEEvPKT1_PS3_S6_li.kd
    .uniform_work_group_size: 1
    .uses_dynamic_stack: false
    .vgpr_count:     72
    .vgpr_spill_count: 0
    .wavefront_size: 64
  - .agpr_count:     0
    .args:
      - .address_space:  global
        .offset:         0
        .size:           8
        .value_kind:     global_buffer
      - .offset:         8
        .size:           4
        .value_kind:     by_value
      - .offset:         12
        .size:           4
        .value_kind:     by_value
      - .address_space:  global
        .offset:         16
        .size:           8
        .value_kind:     global_buffer
      - .offset:         24
        .size:           4
        .value_kind:     hidden_block_count_x
      - .offset:         28
        .size:           4
        .value_kind:     hidden_block_count_y
      - .offset:         32
        .size:           4
        .value_kind:     hidden_block_count_z
      - .offset:         36
        .size:           2
        .value_kind:     hidden_group_size_x
      - .offset:         38
        .size:           2
        .value_kind:     hidden_group_size_y
      - .offset:         40
        .size:           2
        .value_kind:     hidden_group_size_z
      - .offset:         42
        .size:           2
        .value_kind:     hidden_remainder_x
      - .offset:         44
        .size:           2
        .value_kind:     hidden_remainder_y
      - .offset:         46
        .size:           2
        .value_kind:     hidden_remainder_z
      - .offset:         64
        .size:           8
        .value_kind:     hidden_global_offset_x
      - .offset:         72
        .size:           8
        .value_kind:     hidden_global_offset_y
      - .offset:         80
        .size:           8
        .value_kind:     hidden_global_offset_z
      - .offset:         88
        .size:           2
        .value_kind:     hidden_grid_dims
    .group_segment_fixed_size: 0
    .kernarg_segment_align: 8
    .kernarg_segment_size: 280
    .language:       OpenCL C
    .language_version:
      - 2
      - 0
    .max_flat_workgroup_size: 256
    .name:           _ZN7rocprim17ROCPRIM_304000_NS6detail31init_lookback_scan_state_kernelINS1_19lookback_scan_stateIsLb1ELb1EEEEEvT_jjPNS5_10value_typeE
    .private_segment_fixed_size: 0
    .sgpr_count:     18
    .sgpr_spill_count: 0
    .symbol:         _ZN7rocprim17ROCPRIM_304000_NS6detail31init_lookback_scan_state_kernelINS1_19lookback_scan_stateIsLb1ELb1EEEEEvT_jjPNS5_10value_typeE.kd
    .uniform_work_group_size: 1
    .uses_dynamic_stack: false
    .vgpr_count:     6
    .vgpr_spill_count: 0
    .wavefront_size: 64
  - .agpr_count:     0
    .args:
      - .address_space:  global
        .offset:         0
        .size:           8
        .value_kind:     global_buffer
      - .offset:         8
        .size:           4
        .value_kind:     by_value
      - .offset:         12
        .size:           4
        .value_kind:     by_value
      - .address_space:  global
        .offset:         16
        .size:           8
        .value_kind:     global_buffer
      - .offset:         24
        .size:           4
        .value_kind:     hidden_block_count_x
      - .offset:         28
        .size:           4
        .value_kind:     hidden_block_count_y
      - .offset:         32
        .size:           4
        .value_kind:     hidden_block_count_z
      - .offset:         36
        .size:           2
        .value_kind:     hidden_group_size_x
      - .offset:         38
        .size:           2
        .value_kind:     hidden_group_size_y
      - .offset:         40
        .size:           2
        .value_kind:     hidden_group_size_z
      - .offset:         42
        .size:           2
        .value_kind:     hidden_remainder_x
      - .offset:         44
        .size:           2
        .value_kind:     hidden_remainder_y
      - .offset:         46
        .size:           2
        .value_kind:     hidden_remainder_z
      - .offset:         64
        .size:           8
        .value_kind:     hidden_global_offset_x
      - .offset:         72
        .size:           8
        .value_kind:     hidden_global_offset_y
      - .offset:         80
        .size:           8
        .value_kind:     hidden_global_offset_z
      - .offset:         88
        .size:           2
        .value_kind:     hidden_grid_dims
    .group_segment_fixed_size: 0
    .kernarg_segment_align: 8
    .kernarg_segment_size: 280
    .language:       OpenCL C
    .language_version:
      - 2
      - 0
    .max_flat_workgroup_size: 256
    .name:           _ZN7rocprim17ROCPRIM_304000_NS6detail31init_lookback_scan_state_kernelINS1_19lookback_scan_stateIsLb0ELb1EEEEEvT_jjPNS5_10value_typeE
    .private_segment_fixed_size: 0
    .sgpr_count:     16
    .sgpr_spill_count: 0
    .symbol:         _ZN7rocprim17ROCPRIM_304000_NS6detail31init_lookback_scan_state_kernelINS1_19lookback_scan_stateIsLb0ELb1EEEEEvT_jjPNS5_10value_typeE.kd
    .uniform_work_group_size: 1
    .uses_dynamic_stack: false
    .vgpr_count:     6
    .vgpr_spill_count: 0
    .wavefront_size: 64
  - .agpr_count:     0
    .args:
      - .address_space:  global
        .offset:         0
        .size:           8
        .value_kind:     global_buffer
      - .address_space:  global
        .offset:         8
        .size:           8
        .value_kind:     global_buffer
      - .offset:         16
        .size:           8
        .value_kind:     by_value
      - .offset:         24
        .size:           2
        .value_kind:     by_value
      - .offset:         26
        .size:           1
        .value_kind:     by_value
      - .address_space:  global
        .offset:         32
        .size:           8
        .value_kind:     global_buffer
      - .offset:         40
        .size:           4
        .value_kind:     by_value
      - .address_space:  global
        .offset:         48
        .size:           8
        .value_kind:     global_buffer
      - .address_space:  global
        .offset:         56
        .size:           8
        .value_kind:     global_buffer
      - .offset:         64
        .size:           1
        .value_kind:     by_value
      - .offset:         65
        .size:           1
        .value_kind:     by_value
    .group_segment_fixed_size: 0
    .kernarg_segment_align: 8
    .kernarg_segment_size: 68
    .language:       OpenCL C
    .language_version:
      - 2
      - 0
    .max_flat_workgroup_size: 128
    .name:           _ZN7rocprim17ROCPRIM_304000_NS6detail20lookback_scan_kernelILNS1_25lookback_scan_determinismE0ELb0ENS1_19wrapped_scan_configINS0_14default_configEsEEPKsPsSt4plusIsEssNS1_19lookback_scan_stateIsLb1ELb1EEEEEvT2_T3_mT5_T4_T7_jPT6_SK_bb
    .private_segment_fixed_size: 0
    .sgpr_count:     6
    .sgpr_spill_count: 0
    .symbol:         _ZN7rocprim17ROCPRIM_304000_NS6detail20lookback_scan_kernelILNS1_25lookback_scan_determinismE0ELb0ENS1_19wrapped_scan_configINS0_14default_configEsEEPKsPsSt4plusIsEssNS1_19lookback_scan_stateIsLb1ELb1EEEEEvT2_T3_mT5_T4_T7_jPT6_SK_bb.kd
    .uniform_work_group_size: 1
    .uses_dynamic_stack: false
    .vgpr_count:     0
    .vgpr_spill_count: 0
    .wavefront_size: 64
  - .agpr_count:     0
    .args:
      - .address_space:  global
        .offset:         0
        .size:           8
        .value_kind:     global_buffer
      - .address_space:  global
        .offset:         8
        .size:           8
        .value_kind:     global_buffer
      - .offset:         16
        .size:           8
        .value_kind:     by_value
      - .offset:         24
        .size:           2
        .value_kind:     by_value
      - .offset:         26
        .size:           1
        .value_kind:     by_value
      - .address_space:  global
        .offset:         32
        .size:           8
        .value_kind:     global_buffer
      - .offset:         40
        .size:           4
        .value_kind:     by_value
      - .address_space:  global
        .offset:         48
        .size:           8
        .value_kind:     global_buffer
      - .address_space:  global
        .offset:         56
        .size:           8
        .value_kind:     global_buffer
      - .offset:         64
        .size:           1
        .value_kind:     by_value
      - .offset:         65
        .size:           1
        .value_kind:     by_value
    .group_segment_fixed_size: 3584
    .kernarg_segment_align: 8
    .kernarg_segment_size: 68
    .language:       OpenCL C
    .language_version:
      - 2
      - 0
    .max_flat_workgroup_size: 128
    .name:           _ZN7rocprim17ROCPRIM_304000_NS6detail20lookback_scan_kernelILNS1_25lookback_scan_determinismE0ELb0ENS1_19wrapped_scan_configINS0_14default_configEsEEPKsPsSt4plusIsEssNS1_19lookback_scan_stateIsLb0ELb1EEEEEvT2_T3_mT5_T4_T7_jPT6_SK_bb
    .private_segment_fixed_size: 0
    .sgpr_count:     30
    .sgpr_spill_count: 0
    .symbol:         _ZN7rocprim17ROCPRIM_304000_NS6detail20lookback_scan_kernelILNS1_25lookback_scan_determinismE0ELb0ENS1_19wrapped_scan_configINS0_14default_configEsEEPKsPsSt4plusIsEssNS1_19lookback_scan_stateIsLb0ELb1EEEEEvT2_T3_mT5_T4_T7_jPT6_SK_bb.kd
    .uniform_work_group_size: 1
    .uses_dynamic_stack: false
    .vgpr_count:     41
    .vgpr_spill_count: 0
    .wavefront_size: 64
  - .agpr_count:     0
    .args:
      - .address_space:  global
        .offset:         0
        .size:           8
        .value_kind:     global_buffer
      - .offset:         8
        .size:           8
        .value_kind:     by_value
      - .address_space:  global
        .offset:         16
        .size:           8
        .value_kind:     global_buffer
      - .offset:         24
        .size:           1
        .value_kind:     by_value
      - .offset:         32
        .size:           4
        .value_kind:     hidden_block_count_x
      - .offset:         36
        .size:           4
        .value_kind:     hidden_block_count_y
      - .offset:         40
        .size:           4
        .value_kind:     hidden_block_count_z
      - .offset:         44
        .size:           2
        .value_kind:     hidden_group_size_x
      - .offset:         46
        .size:           2
        .value_kind:     hidden_group_size_y
      - .offset:         48
        .size:           2
        .value_kind:     hidden_group_size_z
      - .offset:         50
        .size:           2
        .value_kind:     hidden_remainder_x
      - .offset:         52
        .size:           2
        .value_kind:     hidden_remainder_y
      - .offset:         54
        .size:           2
        .value_kind:     hidden_remainder_z
      - .offset:         72
        .size:           8
        .value_kind:     hidden_global_offset_x
      - .offset:         80
        .size:           8
        .value_kind:     hidden_global_offset_y
      - .offset:         88
        .size:           8
        .value_kind:     hidden_global_offset_z
      - .offset:         96
        .size:           2
        .value_kind:     hidden_grid_dims
    .group_segment_fixed_size: 0
    .kernarg_segment_align: 8
    .kernarg_segment_size: 288
    .language:       OpenCL C
    .language_version:
      - 2
      - 0
    .max_flat_workgroup_size: 128
    .name:           _ZN7rocprim17ROCPRIM_304000_NS6detail16transform_kernelINS1_24wrapped_transform_configINS0_14default_configEsEEsPsS6_NS0_8identityIsEEEEvT1_mT2_T3_
    .private_segment_fixed_size: 0
    .sgpr_count:     21
    .sgpr_spill_count: 0
    .symbol:         _ZN7rocprim17ROCPRIM_304000_NS6detail16transform_kernelINS1_24wrapped_transform_configINS0_14default_configEsEEsPsS6_NS0_8identityIsEEEEvT1_mT2_T3_.kd
    .uniform_work_group_size: 1
    .uses_dynamic_stack: false
    .vgpr_count:     10
    .vgpr_spill_count: 0
    .wavefront_size: 64
  - .agpr_count:     0
    .args:
      - .address_space:  global
        .offset:         0
        .size:           8
        .value_kind:     global_buffer
      - .offset:         8
        .size:           8
        .value_kind:     by_value
      - .offset:         16
        .size:           2
        .value_kind:     by_value
      - .address_space:  global
        .offset:         24
        .size:           8
        .value_kind:     global_buffer
      - .offset:         32
        .size:           1
        .value_kind:     by_value
    .group_segment_fixed_size: 3584
    .kernarg_segment_align: 8
    .kernarg_segment_size: 36
    .language:       OpenCL C
    .language_version:
      - 2
      - 0
    .max_flat_workgroup_size: 128
    .name:           _ZN7rocprim17ROCPRIM_304000_NS6detail18single_scan_kernelILb0ENS1_19wrapped_scan_configINS0_14default_configEsEEPKsPsSt4plusIsEssEEvT1_mT4_T2_T3_
    .private_segment_fixed_size: 0
    .sgpr_count:     38
    .sgpr_spill_count: 0
    .symbol:         _ZN7rocprim17ROCPRIM_304000_NS6detail18single_scan_kernelILb0ENS1_19wrapped_scan_configINS0_14default_configEsEEPKsPsSt4plusIsEssEEvT1_mT4_T2_T3_.kd
    .uniform_work_group_size: 1
    .uses_dynamic_stack: false
    .vgpr_count:     22
    .vgpr_spill_count: 0
    .wavefront_size: 64
  - .agpr_count:     0
    .args:
      - .address_space:  global
        .offset:         0
        .size:           8
        .value_kind:     global_buffer
      - .address_space:  global
        .offset:         8
        .size:           8
        .value_kind:     global_buffer
      - .offset:         16
        .size:           4
        .value_kind:     by_value
      - .offset:         20
        .size:           4
        .value_kind:     by_value
      - .offset:         24
        .size:           4
        .value_kind:     by_value
      - .offset:         28
        .size:           2
        .value_kind:     by_value
      - .offset:         30
        .size:           1
        .value_kind:     by_value
      - .offset:         32
        .size:           4
        .value_kind:     hidden_block_count_x
      - .offset:         36
        .size:           4
        .value_kind:     hidden_block_count_y
      - .offset:         40
        .size:           4
        .value_kind:     hidden_block_count_z
      - .offset:         44
        .size:           2
        .value_kind:     hidden_group_size_x
      - .offset:         46
        .size:           2
        .value_kind:     hidden_group_size_y
      - .offset:         48
        .size:           2
        .value_kind:     hidden_group_size_z
      - .offset:         50
        .size:           2
        .value_kind:     hidden_remainder_x
      - .offset:         52
        .size:           2
        .value_kind:     hidden_remainder_y
      - .offset:         54
        .size:           2
        .value_kind:     hidden_remainder_z
      - .offset:         72
        .size:           8
        .value_kind:     hidden_global_offset_x
      - .offset:         80
        .size:           8
        .value_kind:     hidden_global_offset_y
      - .offset:         88
        .size:           8
        .value_kind:     hidden_global_offset_z
      - .offset:         96
        .size:           2
        .value_kind:     hidden_grid_dims
      - .offset:         152
        .size:           4
        .value_kind:     hidden_dynamic_lds_size
    .group_segment_fixed_size: 0
    .kernarg_segment_align: 8
    .kernarg_segment_size: 288
    .language:       OpenCL C
    .language_version:
      - 2
      - 0
    .max_flat_workgroup_size: 1024
    .name:           _ZN2at6native32tensor_kernel_scan_innermost_dimIsSt4plusIsEEEvPT_PKS4_jjjS4_T0_
    .private_segment_fixed_size: 0
    .sgpr_count:     40
    .sgpr_spill_count: 0
    .symbol:         _ZN2at6native32tensor_kernel_scan_innermost_dimIsSt4plusIsEEEvPT_PKS4_jjjS4_T0_.kd
    .uniform_work_group_size: 1
    .uses_dynamic_stack: false
    .vgpr_count:     24
    .vgpr_spill_count: 0
    .wavefront_size: 64
  - .agpr_count:     0
    .args:
      - .address_space:  global
        .offset:         0
        .size:           8
        .value_kind:     global_buffer
      - .address_space:  global
        .offset:         8
        .size:           8
        .value_kind:     global_buffer
      - .offset:         16
        .size:           4
        .value_kind:     by_value
      - .offset:         20
        .size:           4
        .value_kind:     by_value
      - .offset:         24
        .size:           4
        .value_kind:     by_value
      - .offset:         28
        .size:           2
        .value_kind:     by_value
      - .offset:         30
        .size:           1
        .value_kind:     by_value
      - .offset:         32
        .size:           4
        .value_kind:     hidden_block_count_x
      - .offset:         36
        .size:           4
        .value_kind:     hidden_block_count_y
      - .offset:         40
        .size:           4
        .value_kind:     hidden_block_count_z
      - .offset:         44
        .size:           2
        .value_kind:     hidden_group_size_x
      - .offset:         46
        .size:           2
        .value_kind:     hidden_group_size_y
      - .offset:         48
        .size:           2
        .value_kind:     hidden_group_size_z
      - .offset:         50
        .size:           2
        .value_kind:     hidden_remainder_x
      - .offset:         52
        .size:           2
        .value_kind:     hidden_remainder_y
      - .offset:         54
        .size:           2
        .value_kind:     hidden_remainder_z
      - .offset:         72
        .size:           8
        .value_kind:     hidden_global_offset_x
      - .offset:         80
        .size:           8
        .value_kind:     hidden_global_offset_y
      - .offset:         88
        .size:           8
        .value_kind:     hidden_global_offset_z
      - .offset:         96
        .size:           2
        .value_kind:     hidden_grid_dims
    .group_segment_fixed_size: 0
    .kernarg_segment_align: 8
    .kernarg_segment_size: 288
    .language:       OpenCL C
    .language_version:
      - 2
      - 0
    .max_flat_workgroup_size: 1024
    .name:           _ZN2at6native28tensor_kernel_scan_outer_dimIsjSt4plusIsEEEvPT_PKS4_jjjS4_T1_
    .private_segment_fixed_size: 0
    .sgpr_count:     36
    .sgpr_spill_count: 0
    .symbol:         _ZN2at6native28tensor_kernel_scan_outer_dimIsjSt4plusIsEEEvPT_PKS4_jjjS4_T1_.kd
    .uniform_work_group_size: 1
    .uses_dynamic_stack: false
    .vgpr_count:     9
    .vgpr_spill_count: 0
    .wavefront_size: 64
  - .agpr_count:     0
    .args:
      - .address_space:  global
        .offset:         0
        .size:           8
        .value_kind:     global_buffer
      - .address_space:  global
        .offset:         8
        .size:           8
        .value_kind:     global_buffer
      - .offset:         16
        .size:           4
        .value_kind:     by_value
      - .offset:         20
        .size:           4
        .value_kind:     by_value
      - .offset:         24
        .size:           4
        .value_kind:     by_value
      - .offset:         28
        .size:           2
        .value_kind:     by_value
      - .offset:         30
        .size:           1
        .value_kind:     by_value
      - .offset:         32
        .size:           4
        .value_kind:     hidden_block_count_x
      - .offset:         36
        .size:           4
        .value_kind:     hidden_block_count_y
      - .offset:         40
        .size:           4
        .value_kind:     hidden_block_count_z
      - .offset:         44
        .size:           2
        .value_kind:     hidden_group_size_x
      - .offset:         46
        .size:           2
        .value_kind:     hidden_group_size_y
      - .offset:         48
        .size:           2
        .value_kind:     hidden_group_size_z
      - .offset:         50
        .size:           2
        .value_kind:     hidden_remainder_x
      - .offset:         52
        .size:           2
        .value_kind:     hidden_remainder_y
      - .offset:         54
        .size:           2
        .value_kind:     hidden_remainder_z
      - .offset:         72
        .size:           8
        .value_kind:     hidden_global_offset_x
      - .offset:         80
        .size:           8
        .value_kind:     hidden_global_offset_y
      - .offset:         88
        .size:           8
        .value_kind:     hidden_global_offset_z
      - .offset:         96
        .size:           2
        .value_kind:     hidden_grid_dims
    .group_segment_fixed_size: 0
    .kernarg_segment_align: 8
    .kernarg_segment_size: 288
    .language:       OpenCL C
    .language_version:
      - 2
      - 0
    .max_flat_workgroup_size: 1024
    .name:           _ZN2at6native28tensor_kernel_scan_outer_dimIsmSt4plusIsEEEvPT_PKS4_jjjS4_T1_
    .private_segment_fixed_size: 0
    .sgpr_count:     35
    .sgpr_spill_count: 0
    .symbol:         _ZN2at6native28tensor_kernel_scan_outer_dimIsmSt4plusIsEEEvPT_PKS4_jjjS4_T1_.kd
    .uniform_work_group_size: 1
    .uses_dynamic_stack: false
    .vgpr_count:     9
    .vgpr_spill_count: 0
    .wavefront_size: 64
  - .agpr_count:     0
    .args:
      - .address_space:  global
        .offset:         0
        .size:           8
        .value_kind:     global_buffer
      - .address_space:  global
        .offset:         8
        .size:           8
        .value_kind:     global_buffer
      - .offset:         16
        .size:           8
        .value_kind:     by_value
      - .offset:         24
        .size:           4
        .value_kind:     by_value
    .group_segment_fixed_size: 32
    .kernarg_segment_align: 8
    .kernarg_segment_size: 28
    .language:       OpenCL C
    .language_version:
      - 2
      - 0
    .max_flat_workgroup_size: 1024
    .name:           _ZN2at4cuda3cub15calc_block_sumsILi256ELi16ELb0EddEEvPKT2_PT3_li
    .private_segment_fixed_size: 0
    .sgpr_count:     21
    .sgpr_spill_count: 0
    .symbol:         _ZN2at4cuda3cub15calc_block_sumsILi256ELi16ELb0EddEEvPKT2_PT3_li.kd
    .uniform_work_group_size: 1
    .uses_dynamic_stack: false
    .vgpr_count:     52
    .vgpr_spill_count: 0
    .wavefront_size: 64
  - .agpr_count:     0
    .args:
      - .address_space:  global
        .offset:         0
        .size:           8
        .value_kind:     global_buffer
      - .address_space:  global
        .offset:         8
        .size:           8
        .value_kind:     global_buffer
      - .address_space:  global
        .offset:         16
        .size:           8
        .value_kind:     global_buffer
      - .offset:         24
        .size:           8
        .value_kind:     by_value
      - .offset:         32
        .size:           4
        .value_kind:     by_value
      - .offset:         40
        .size:           4
        .value_kind:     hidden_block_count_x
      - .offset:         44
        .size:           4
        .value_kind:     hidden_block_count_y
      - .offset:         48
        .size:           4
        .value_kind:     hidden_block_count_z
      - .offset:         52
        .size:           2
        .value_kind:     hidden_group_size_x
      - .offset:         54
        .size:           2
        .value_kind:     hidden_group_size_y
      - .offset:         56
        .size:           2
        .value_kind:     hidden_group_size_z
      - .offset:         58
        .size:           2
        .value_kind:     hidden_remainder_x
      - .offset:         60
        .size:           2
        .value_kind:     hidden_remainder_y
      - .offset:         62
        .size:           2
        .value_kind:     hidden_remainder_z
      - .offset:         80
        .size:           8
        .value_kind:     hidden_global_offset_x
      - .offset:         88
        .size:           8
        .value_kind:     hidden_global_offset_y
      - .offset:         96
        .size:           8
        .value_kind:     hidden_global_offset_z
      - .offset:         104
        .size:           2
        .value_kind:     hidden_grid_dims
    .group_segment_fixed_size: 33792
    .kernarg_segment_align: 8
    .kernarg_segment_size: 296
    .language:       OpenCL C
    .language_version:
      - 2
      - 0
    .max_flat_workgroup_size: 1024
    .name:           _ZN2at4cuda3cub17final_scan_kernelILi256ELi16EdEEvPKT1_PS3_S6_li
    .private_segment_fixed_size: 0
    .sgpr_count:     50
    .sgpr_spill_count: 0
    .symbol:         _ZN2at4cuda3cub17final_scan_kernelILi256ELi16EdEEvPKT1_PS3_S6_li.kd
    .uniform_work_group_size: 1
    .uses_dynamic_stack: false
    .vgpr_count:     119
    .vgpr_spill_count: 0
    .wavefront_size: 64
  - .agpr_count:     0
    .args:
      - .address_space:  global
        .offset:         0
        .size:           8
        .value_kind:     global_buffer
      - .offset:         8
        .size:           4
        .value_kind:     by_value
      - .offset:         12
        .size:           4
        .value_kind:     by_value
      - .address_space:  global
        .offset:         16
        .size:           8
        .value_kind:     global_buffer
      - .offset:         24
        .size:           4
        .value_kind:     hidden_block_count_x
      - .offset:         28
        .size:           4
        .value_kind:     hidden_block_count_y
      - .offset:         32
        .size:           4
        .value_kind:     hidden_block_count_z
      - .offset:         36
        .size:           2
        .value_kind:     hidden_group_size_x
      - .offset:         38
        .size:           2
        .value_kind:     hidden_group_size_y
      - .offset:         40
        .size:           2
        .value_kind:     hidden_group_size_z
      - .offset:         42
        .size:           2
        .value_kind:     hidden_remainder_x
      - .offset:         44
        .size:           2
        .value_kind:     hidden_remainder_y
      - .offset:         46
        .size:           2
        .value_kind:     hidden_remainder_z
      - .offset:         64
        .size:           8
        .value_kind:     hidden_global_offset_x
      - .offset:         72
        .size:           8
        .value_kind:     hidden_global_offset_y
      - .offset:         80
        .size:           8
        .value_kind:     hidden_global_offset_z
      - .offset:         88
        .size:           2
        .value_kind:     hidden_grid_dims
    .group_segment_fixed_size: 0
    .kernarg_segment_align: 8
    .kernarg_segment_size: 280
    .language:       OpenCL C
    .language_version:
      - 2
      - 0
    .max_flat_workgroup_size: 256
    .name:           _ZN7rocprim17ROCPRIM_304000_NS6detail31init_lookback_scan_state_kernelINS1_19lookback_scan_stateIdLb1ELb1EEEEEvT_jjPNS5_10value_typeE
    .private_segment_fixed_size: 0
    .sgpr_count:     20
    .sgpr_spill_count: 0
    .symbol:         _ZN7rocprim17ROCPRIM_304000_NS6detail31init_lookback_scan_state_kernelINS1_19lookback_scan_stateIdLb1ELb1EEEEEvT_jjPNS5_10value_typeE.kd
    .uniform_work_group_size: 1
    .uses_dynamic_stack: false
    .vgpr_count:     10
    .vgpr_spill_count: 0
    .wavefront_size: 64
  - .agpr_count:     0
    .args:
      - .address_space:  global
        .offset:         0
        .size:           8
        .value_kind:     global_buffer
      - .offset:         8
        .size:           4
        .value_kind:     by_value
      - .offset:         12
        .size:           4
        .value_kind:     by_value
      - .address_space:  global
        .offset:         16
        .size:           8
        .value_kind:     global_buffer
      - .offset:         24
        .size:           4
        .value_kind:     hidden_block_count_x
      - .offset:         28
        .size:           4
        .value_kind:     hidden_block_count_y
      - .offset:         32
        .size:           4
        .value_kind:     hidden_block_count_z
      - .offset:         36
        .size:           2
        .value_kind:     hidden_group_size_x
      - .offset:         38
        .size:           2
        .value_kind:     hidden_group_size_y
      - .offset:         40
        .size:           2
        .value_kind:     hidden_group_size_z
      - .offset:         42
        .size:           2
        .value_kind:     hidden_remainder_x
      - .offset:         44
        .size:           2
        .value_kind:     hidden_remainder_y
      - .offset:         46
        .size:           2
        .value_kind:     hidden_remainder_z
      - .offset:         64
        .size:           8
        .value_kind:     hidden_global_offset_x
      - .offset:         72
        .size:           8
        .value_kind:     hidden_global_offset_y
      - .offset:         80
        .size:           8
        .value_kind:     hidden_global_offset_z
      - .offset:         88
        .size:           2
        .value_kind:     hidden_grid_dims
    .group_segment_fixed_size: 0
    .kernarg_segment_align: 8
    .kernarg_segment_size: 280
    .language:       OpenCL C
    .language_version:
      - 2
      - 0
    .max_flat_workgroup_size: 256
    .name:           _ZN7rocprim17ROCPRIM_304000_NS6detail31init_lookback_scan_state_kernelINS1_19lookback_scan_stateIdLb0ELb1EEEEEvT_jjPNS5_10value_typeE
    .private_segment_fixed_size: 0
    .sgpr_count:     20
    .sgpr_spill_count: 0
    .symbol:         _ZN7rocprim17ROCPRIM_304000_NS6detail31init_lookback_scan_state_kernelINS1_19lookback_scan_stateIdLb0ELb1EEEEEvT_jjPNS5_10value_typeE.kd
    .uniform_work_group_size: 1
    .uses_dynamic_stack: false
    .vgpr_count:     10
    .vgpr_spill_count: 0
    .wavefront_size: 64
  - .agpr_count:     0
    .args:
      - .address_space:  global
        .offset:         0
        .size:           8
        .value_kind:     global_buffer
      - .address_space:  global
        .offset:         8
        .size:           8
        .value_kind:     global_buffer
      - .offset:         16
        .size:           8
        .value_kind:     by_value
      - .offset:         24
        .size:           8
        .value_kind:     by_value
      - .offset:         32
        .size:           1
        .value_kind:     by_value
      - .address_space:  global
        .offset:         40
        .size:           8
        .value_kind:     global_buffer
      - .offset:         48
        .size:           4
        .value_kind:     by_value
      - .address_space:  global
        .offset:         56
        .size:           8
        .value_kind:     global_buffer
      - .address_space:  global
        .offset:         64
        .size:           8
        .value_kind:     global_buffer
      - .offset:         72
        .size:           1
        .value_kind:     by_value
      - .offset:         73
        .size:           1
        .value_kind:     by_value
    .group_segment_fixed_size: 0
    .kernarg_segment_align: 8
    .kernarg_segment_size: 76
    .language:       OpenCL C
    .language_version:
      - 2
      - 0
    .max_flat_workgroup_size: 256
    .name:           _ZN7rocprim17ROCPRIM_304000_NS6detail20lookback_scan_kernelILNS1_25lookback_scan_determinismE0ELb0ENS1_19wrapped_scan_configINS0_14default_configEdEEPKdPdSt4plusIdEddNS1_19lookback_scan_stateIdLb1ELb1EEEEEvT2_T3_mT5_T4_T7_jPT6_SK_bb
    .private_segment_fixed_size: 0
    .sgpr_count:     6
    .sgpr_spill_count: 0
    .symbol:         _ZN7rocprim17ROCPRIM_304000_NS6detail20lookback_scan_kernelILNS1_25lookback_scan_determinismE0ELb0ENS1_19wrapped_scan_configINS0_14default_configEdEEPKdPdSt4plusIdEddNS1_19lookback_scan_stateIdLb1ELb1EEEEEvT2_T3_mT5_T4_T7_jPT6_SK_bb.kd
    .uniform_work_group_size: 1
    .uses_dynamic_stack: false
    .vgpr_count:     0
    .vgpr_spill_count: 0
    .wavefront_size: 64
  - .agpr_count:     0
    .args:
      - .address_space:  global
        .offset:         0
        .size:           8
        .value_kind:     global_buffer
      - .address_space:  global
        .offset:         8
        .size:           8
        .value_kind:     global_buffer
      - .offset:         16
        .size:           8
        .value_kind:     by_value
      - .offset:         24
        .size:           8
        .value_kind:     by_value
      - .offset:         32
        .size:           1
        .value_kind:     by_value
      - .address_space:  global
        .offset:         40
        .size:           8
        .value_kind:     global_buffer
      - .offset:         48
        .size:           4
        .value_kind:     by_value
      - .address_space:  global
        .offset:         56
        .size:           8
        .value_kind:     global_buffer
      - .address_space:  global
        .offset:         64
        .size:           8
        .value_kind:     global_buffer
      - .offset:         72
        .size:           1
        .value_kind:     by_value
      - .offset:         73
        .size:           1
        .value_kind:     by_value
    .group_segment_fixed_size: 12288
    .kernarg_segment_align: 8
    .kernarg_segment_size: 76
    .language:       OpenCL C
    .language_version:
      - 2
      - 0
    .max_flat_workgroup_size: 256
    .name:           _ZN7rocprim17ROCPRIM_304000_NS6detail20lookback_scan_kernelILNS1_25lookback_scan_determinismE0ELb0ENS1_19wrapped_scan_configINS0_14default_configEdEEPKdPdSt4plusIdEddNS1_19lookback_scan_stateIdLb0ELb1EEEEEvT2_T3_mT5_T4_T7_jPT6_SK_bb
    .private_segment_fixed_size: 0
    .sgpr_count:     36
    .sgpr_spill_count: 0
    .symbol:         _ZN7rocprim17ROCPRIM_304000_NS6detail20lookback_scan_kernelILNS1_25lookback_scan_determinismE0ELb0ENS1_19wrapped_scan_configINS0_14default_configEdEEPKdPdSt4plusIdEddNS1_19lookback_scan_stateIdLb0ELb1EEEEEvT2_T3_mT5_T4_T7_jPT6_SK_bb.kd
    .uniform_work_group_size: 1
    .uses_dynamic_stack: false
    .vgpr_count:     46
    .vgpr_spill_count: 0
    .wavefront_size: 64
  - .agpr_count:     0
    .args:
      - .address_space:  global
        .offset:         0
        .size:           8
        .value_kind:     global_buffer
      - .offset:         8
        .size:           8
        .value_kind:     by_value
      - .address_space:  global
        .offset:         16
        .size:           8
        .value_kind:     global_buffer
      - .offset:         24
        .size:           1
        .value_kind:     by_value
      - .offset:         32
        .size:           4
        .value_kind:     hidden_block_count_x
      - .offset:         36
        .size:           4
        .value_kind:     hidden_block_count_y
      - .offset:         40
        .size:           4
        .value_kind:     hidden_block_count_z
      - .offset:         44
        .size:           2
        .value_kind:     hidden_group_size_x
      - .offset:         46
        .size:           2
        .value_kind:     hidden_group_size_y
      - .offset:         48
        .size:           2
        .value_kind:     hidden_group_size_z
      - .offset:         50
        .size:           2
        .value_kind:     hidden_remainder_x
      - .offset:         52
        .size:           2
        .value_kind:     hidden_remainder_y
      - .offset:         54
        .size:           2
        .value_kind:     hidden_remainder_z
      - .offset:         72
        .size:           8
        .value_kind:     hidden_global_offset_x
      - .offset:         80
        .size:           8
        .value_kind:     hidden_global_offset_y
      - .offset:         88
        .size:           8
        .value_kind:     hidden_global_offset_z
      - .offset:         96
        .size:           2
        .value_kind:     hidden_grid_dims
    .group_segment_fixed_size: 0
    .kernarg_segment_align: 8
    .kernarg_segment_size: 288
    .language:       OpenCL C
    .language_version:
      - 2
      - 0
    .max_flat_workgroup_size: 128
    .name:           _ZN7rocprim17ROCPRIM_304000_NS6detail16transform_kernelINS1_24wrapped_transform_configINS0_14default_configEdEEdPdS6_NS0_8identityIdEEEEvT1_mT2_T3_
    .private_segment_fixed_size: 0
    .sgpr_count:     16
    .sgpr_spill_count: 0
    .symbol:         _ZN7rocprim17ROCPRIM_304000_NS6detail16transform_kernelINS1_24wrapped_transform_configINS0_14default_configEdEEdPdS6_NS0_8identityIdEEEEvT1_mT2_T3_.kd
    .uniform_work_group_size: 1
    .uses_dynamic_stack: false
    .vgpr_count:     3
    .vgpr_spill_count: 0
    .wavefront_size: 64
  - .agpr_count:     0
    .args:
      - .address_space:  global
        .offset:         0
        .size:           8
        .value_kind:     global_buffer
      - .offset:         8
        .size:           8
        .value_kind:     by_value
      - .offset:         16
        .size:           8
        .value_kind:     by_value
      - .address_space:  global
        .offset:         24
        .size:           8
        .value_kind:     global_buffer
      - .offset:         32
        .size:           1
        .value_kind:     by_value
    .group_segment_fixed_size: 12288
    .kernarg_segment_align: 8
    .kernarg_segment_size: 36
    .language:       OpenCL C
    .language_version:
      - 2
      - 0
    .max_flat_workgroup_size: 256
    .name:           _ZN7rocprim17ROCPRIM_304000_NS6detail18single_scan_kernelILb0ENS1_19wrapped_scan_configINS0_14default_configEdEEPKdPdSt4plusIdEddEEvT1_mT4_T2_T3_
    .private_segment_fixed_size: 0
    .sgpr_count:     26
    .sgpr_spill_count: 0
    .symbol:         _ZN7rocprim17ROCPRIM_304000_NS6detail18single_scan_kernelILb0ENS1_19wrapped_scan_configINS0_14default_configEdEEPKdPdSt4plusIdEddEEvT1_mT4_T2_T3_.kd
    .uniform_work_group_size: 1
    .uses_dynamic_stack: false
    .vgpr_count:     39
    .vgpr_spill_count: 0
    .wavefront_size: 64
  - .agpr_count:     0
    .args:
      - .address_space:  global
        .offset:         0
        .size:           8
        .value_kind:     global_buffer
      - .address_space:  global
        .offset:         8
        .size:           8
        .value_kind:     global_buffer
      - .offset:         16
        .size:           4
        .value_kind:     by_value
      - .offset:         20
        .size:           4
        .value_kind:     by_value
      - .offset:         24
        .size:           4
        .value_kind:     by_value
      - .offset:         32
        .size:           8
        .value_kind:     by_value
      - .offset:         40
        .size:           1
        .value_kind:     by_value
      - .offset:         48
        .size:           4
        .value_kind:     hidden_block_count_x
      - .offset:         52
        .size:           4
        .value_kind:     hidden_block_count_y
      - .offset:         56
        .size:           4
        .value_kind:     hidden_block_count_z
      - .offset:         60
        .size:           2
        .value_kind:     hidden_group_size_x
      - .offset:         62
        .size:           2
        .value_kind:     hidden_group_size_y
      - .offset:         64
        .size:           2
        .value_kind:     hidden_group_size_z
      - .offset:         66
        .size:           2
        .value_kind:     hidden_remainder_x
      - .offset:         68
        .size:           2
        .value_kind:     hidden_remainder_y
      - .offset:         70
        .size:           2
        .value_kind:     hidden_remainder_z
      - .offset:         88
        .size:           8
        .value_kind:     hidden_global_offset_x
      - .offset:         96
        .size:           8
        .value_kind:     hidden_global_offset_y
      - .offset:         104
        .size:           8
        .value_kind:     hidden_global_offset_z
      - .offset:         112
        .size:           2
        .value_kind:     hidden_grid_dims
      - .offset:         168
        .size:           4
        .value_kind:     hidden_dynamic_lds_size
    .group_segment_fixed_size: 0
    .kernarg_segment_align: 8
    .kernarg_segment_size: 304
    .language:       OpenCL C
    .language_version:
      - 2
      - 0
    .max_flat_workgroup_size: 1024
    .name:           _ZN2at6native32tensor_kernel_scan_innermost_dimIdSt4plusIdEEEvPT_PKS4_jjjS4_T0_
    .private_segment_fixed_size: 0
    .sgpr_count:     41
    .sgpr_spill_count: 0
    .symbol:         _ZN2at6native32tensor_kernel_scan_innermost_dimIdSt4plusIdEEEvPT_PKS4_jjjS4_T0_.kd
    .uniform_work_group_size: 1
    .uses_dynamic_stack: false
    .vgpr_count:     24
    .vgpr_spill_count: 0
    .wavefront_size: 64
  - .agpr_count:     0
    .args:
      - .address_space:  global
        .offset:         0
        .size:           8
        .value_kind:     global_buffer
      - .address_space:  global
        .offset:         8
        .size:           8
        .value_kind:     global_buffer
      - .offset:         16
        .size:           4
        .value_kind:     by_value
      - .offset:         20
        .size:           4
        .value_kind:     by_value
      - .offset:         24
        .size:           4
        .value_kind:     by_value
      - .offset:         32
        .size:           8
        .value_kind:     by_value
      - .offset:         40
        .size:           1
        .value_kind:     by_value
      - .offset:         48
        .size:           4
        .value_kind:     hidden_block_count_x
      - .offset:         52
        .size:           4
        .value_kind:     hidden_block_count_y
      - .offset:         56
        .size:           4
        .value_kind:     hidden_block_count_z
      - .offset:         60
        .size:           2
        .value_kind:     hidden_group_size_x
      - .offset:         62
        .size:           2
        .value_kind:     hidden_group_size_y
      - .offset:         64
        .size:           2
        .value_kind:     hidden_group_size_z
      - .offset:         66
        .size:           2
        .value_kind:     hidden_remainder_x
      - .offset:         68
        .size:           2
        .value_kind:     hidden_remainder_y
      - .offset:         70
        .size:           2
        .value_kind:     hidden_remainder_z
      - .offset:         88
        .size:           8
        .value_kind:     hidden_global_offset_x
      - .offset:         96
        .size:           8
        .value_kind:     hidden_global_offset_y
      - .offset:         104
        .size:           8
        .value_kind:     hidden_global_offset_z
      - .offset:         112
        .size:           2
        .value_kind:     hidden_grid_dims
    .group_segment_fixed_size: 0
    .kernarg_segment_align: 8
    .kernarg_segment_size: 304
    .language:       OpenCL C
    .language_version:
      - 2
      - 0
    .max_flat_workgroup_size: 1024
    .name:           _ZN2at6native28tensor_kernel_scan_outer_dimIdjSt4plusIdEEEvPT_PKS4_jjjS4_T1_
    .private_segment_fixed_size: 0
    .sgpr_count:     37
    .sgpr_spill_count: 0
    .symbol:         _ZN2at6native28tensor_kernel_scan_outer_dimIdjSt4plusIdEEEvPT_PKS4_jjjS4_T1_.kd
    .uniform_work_group_size: 1
    .uses_dynamic_stack: false
    .vgpr_count:     12
    .vgpr_spill_count: 0
    .wavefront_size: 64
  - .agpr_count:     0
    .args:
      - .address_space:  global
        .offset:         0
        .size:           8
        .value_kind:     global_buffer
      - .address_space:  global
        .offset:         8
        .size:           8
        .value_kind:     global_buffer
      - .offset:         16
        .size:           4
        .value_kind:     by_value
      - .offset:         20
        .size:           4
        .value_kind:     by_value
      - .offset:         24
        .size:           4
        .value_kind:     by_value
      - .offset:         32
        .size:           8
        .value_kind:     by_value
      - .offset:         40
        .size:           1
        .value_kind:     by_value
      - .offset:         48
        .size:           4
        .value_kind:     hidden_block_count_x
      - .offset:         52
        .size:           4
        .value_kind:     hidden_block_count_y
      - .offset:         56
        .size:           4
        .value_kind:     hidden_block_count_z
      - .offset:         60
        .size:           2
        .value_kind:     hidden_group_size_x
      - .offset:         62
        .size:           2
        .value_kind:     hidden_group_size_y
      - .offset:         64
        .size:           2
        .value_kind:     hidden_group_size_z
      - .offset:         66
        .size:           2
        .value_kind:     hidden_remainder_x
      - .offset:         68
        .size:           2
        .value_kind:     hidden_remainder_y
      - .offset:         70
        .size:           2
        .value_kind:     hidden_remainder_z
      - .offset:         88
        .size:           8
        .value_kind:     hidden_global_offset_x
      - .offset:         96
        .size:           8
        .value_kind:     hidden_global_offset_y
      - .offset:         104
        .size:           8
        .value_kind:     hidden_global_offset_z
      - .offset:         112
        .size:           2
        .value_kind:     hidden_grid_dims
    .group_segment_fixed_size: 0
    .kernarg_segment_align: 8
    .kernarg_segment_size: 304
    .language:       OpenCL C
    .language_version:
      - 2
      - 0
    .max_flat_workgroup_size: 1024
    .name:           _ZN2at6native28tensor_kernel_scan_outer_dimIdmSt4plusIdEEEvPT_PKS4_jjjS4_T1_
    .private_segment_fixed_size: 0
    .sgpr_count:     36
    .sgpr_spill_count: 0
    .symbol:         _ZN2at6native28tensor_kernel_scan_outer_dimIdmSt4plusIdEEEvPT_PKS4_jjjS4_T1_.kd
    .uniform_work_group_size: 1
    .uses_dynamic_stack: false
    .vgpr_count:     12
    .vgpr_spill_count: 0
    .wavefront_size: 64
  - .agpr_count:     0
    .args:
      - .address_space:  global
        .offset:         0
        .size:           8
        .value_kind:     global_buffer
      - .address_space:  global
        .offset:         8
        .size:           8
        .value_kind:     global_buffer
      - .offset:         16
        .size:           8
        .value_kind:     by_value
      - .offset:         24
        .size:           4
        .value_kind:     by_value
    .group_segment_fixed_size: 32
    .kernarg_segment_align: 8
    .kernarg_segment_size: 28
    .language:       OpenCL C
    .language_version:
      - 2
      - 0
    .max_flat_workgroup_size: 1024
    .name:           _ZN2at4cuda3cub15calc_block_sumsILi512ELi16ELb0EffEEvPKT2_PT3_li
    .private_segment_fixed_size: 0
    .sgpr_count:     21
    .sgpr_spill_count: 0
    .symbol:         _ZN2at4cuda3cub15calc_block_sumsILi512ELi16ELb0EffEEvPKT2_PT3_li.kd
    .uniform_work_group_size: 1
    .uses_dynamic_stack: false
    .vgpr_count:     48
    .vgpr_spill_count: 0
    .wavefront_size: 64
  - .agpr_count:     0
    .args:
      - .address_space:  global
        .offset:         0
        .size:           8
        .value_kind:     global_buffer
      - .address_space:  global
        .offset:         8
        .size:           8
        .value_kind:     global_buffer
      - .address_space:  global
        .offset:         16
        .size:           8
        .value_kind:     global_buffer
      - .offset:         24
        .size:           8
        .value_kind:     by_value
      - .offset:         32
        .size:           4
        .value_kind:     by_value
      - .offset:         40
        .size:           4
        .value_kind:     hidden_block_count_x
      - .offset:         44
        .size:           4
        .value_kind:     hidden_block_count_y
      - .offset:         48
        .size:           4
        .value_kind:     hidden_block_count_z
      - .offset:         52
        .size:           2
        .value_kind:     hidden_group_size_x
      - .offset:         54
        .size:           2
        .value_kind:     hidden_group_size_y
      - .offset:         56
        .size:           2
        .value_kind:     hidden_group_size_z
      - .offset:         58
        .size:           2
        .value_kind:     hidden_remainder_x
      - .offset:         60
        .size:           2
        .value_kind:     hidden_remainder_y
      - .offset:         62
        .size:           2
        .value_kind:     hidden_remainder_z
      - .offset:         80
        .size:           8
        .value_kind:     hidden_global_offset_x
      - .offset:         88
        .size:           8
        .value_kind:     hidden_global_offset_y
      - .offset:         96
        .size:           8
        .value_kind:     hidden_global_offset_z
      - .offset:         104
        .size:           2
        .value_kind:     hidden_grid_dims
    .group_segment_fixed_size: 33792
    .kernarg_segment_align: 8
    .kernarg_segment_size: 296
    .language:       OpenCL C
    .language_version:
      - 2
      - 0
    .max_flat_workgroup_size: 1024
    .name:           _ZN2at4cuda3cub17final_scan_kernelILi512ELi16EfEEvPKT1_PS3_S6_li
    .private_segment_fixed_size: 0
    .sgpr_count:     50
    .sgpr_spill_count: 0
    .symbol:         _ZN2at4cuda3cub17final_scan_kernelILi512ELi16EfEEvPKT1_PS3_S6_li.kd
    .uniform_work_group_size: 1
    .uses_dynamic_stack: false
    .vgpr_count:     80
    .vgpr_spill_count: 0
    .wavefront_size: 64
  - .agpr_count:     0
    .args:
      - .address_space:  global
        .offset:         0
        .size:           8
        .value_kind:     global_buffer
      - .offset:         8
        .size:           4
        .value_kind:     by_value
      - .offset:         12
        .size:           4
        .value_kind:     by_value
      - .address_space:  global
        .offset:         16
        .size:           8
        .value_kind:     global_buffer
      - .offset:         24
        .size:           4
        .value_kind:     hidden_block_count_x
      - .offset:         28
        .size:           4
        .value_kind:     hidden_block_count_y
      - .offset:         32
        .size:           4
        .value_kind:     hidden_block_count_z
      - .offset:         36
        .size:           2
        .value_kind:     hidden_group_size_x
      - .offset:         38
        .size:           2
        .value_kind:     hidden_group_size_y
      - .offset:         40
        .size:           2
        .value_kind:     hidden_group_size_z
      - .offset:         42
        .size:           2
        .value_kind:     hidden_remainder_x
      - .offset:         44
        .size:           2
        .value_kind:     hidden_remainder_y
      - .offset:         46
        .size:           2
        .value_kind:     hidden_remainder_z
      - .offset:         64
        .size:           8
        .value_kind:     hidden_global_offset_x
      - .offset:         72
        .size:           8
        .value_kind:     hidden_global_offset_y
      - .offset:         80
        .size:           8
        .value_kind:     hidden_global_offset_z
      - .offset:         88
        .size:           2
        .value_kind:     hidden_grid_dims
    .group_segment_fixed_size: 0
    .kernarg_segment_align: 8
    .kernarg_segment_size: 280
    .language:       OpenCL C
    .language_version:
      - 2
      - 0
    .max_flat_workgroup_size: 256
    .name:           _ZN7rocprim17ROCPRIM_304000_NS6detail31init_lookback_scan_state_kernelINS1_19lookback_scan_stateIfLb1ELb1EEEEEvT_jjPNS5_10value_typeE
    .private_segment_fixed_size: 0
    .sgpr_count:     18
    .sgpr_spill_count: 0
    .symbol:         _ZN7rocprim17ROCPRIM_304000_NS6detail31init_lookback_scan_state_kernelINS1_19lookback_scan_stateIfLb1ELb1EEEEEvT_jjPNS5_10value_typeE.kd
    .uniform_work_group_size: 1
    .uses_dynamic_stack: false
    .vgpr_count:     6
    .vgpr_spill_count: 0
    .wavefront_size: 64
  - .agpr_count:     0
    .args:
      - .address_space:  global
        .offset:         0
        .size:           8
        .value_kind:     global_buffer
      - .offset:         8
        .size:           4
        .value_kind:     by_value
      - .offset:         12
        .size:           4
        .value_kind:     by_value
      - .address_space:  global
        .offset:         16
        .size:           8
        .value_kind:     global_buffer
      - .offset:         24
        .size:           4
        .value_kind:     hidden_block_count_x
      - .offset:         28
        .size:           4
        .value_kind:     hidden_block_count_y
      - .offset:         32
        .size:           4
        .value_kind:     hidden_block_count_z
      - .offset:         36
        .size:           2
        .value_kind:     hidden_group_size_x
      - .offset:         38
        .size:           2
        .value_kind:     hidden_group_size_y
      - .offset:         40
        .size:           2
        .value_kind:     hidden_group_size_z
      - .offset:         42
        .size:           2
        .value_kind:     hidden_remainder_x
      - .offset:         44
        .size:           2
        .value_kind:     hidden_remainder_y
      - .offset:         46
        .size:           2
        .value_kind:     hidden_remainder_z
      - .offset:         64
        .size:           8
        .value_kind:     hidden_global_offset_x
      - .offset:         72
        .size:           8
        .value_kind:     hidden_global_offset_y
      - .offset:         80
        .size:           8
        .value_kind:     hidden_global_offset_z
      - .offset:         88
        .size:           2
        .value_kind:     hidden_grid_dims
    .group_segment_fixed_size: 0
    .kernarg_segment_align: 8
    .kernarg_segment_size: 280
    .language:       OpenCL C
    .language_version:
      - 2
      - 0
    .max_flat_workgroup_size: 256
    .name:           _ZN7rocprim17ROCPRIM_304000_NS6detail31init_lookback_scan_state_kernelINS1_19lookback_scan_stateIfLb0ELb1EEEEEvT_jjPNS5_10value_typeE
    .private_segment_fixed_size: 0
    .sgpr_count:     16
    .sgpr_spill_count: 0
    .symbol:         _ZN7rocprim17ROCPRIM_304000_NS6detail31init_lookback_scan_state_kernelINS1_19lookback_scan_stateIfLb0ELb1EEEEEvT_jjPNS5_10value_typeE.kd
    .uniform_work_group_size: 1
    .uses_dynamic_stack: false
    .vgpr_count:     6
    .vgpr_spill_count: 0
    .wavefront_size: 64
  - .agpr_count:     0
    .args:
      - .address_space:  global
        .offset:         0
        .size:           8
        .value_kind:     global_buffer
      - .address_space:  global
        .offset:         8
        .size:           8
        .value_kind:     global_buffer
      - .offset:         16
        .size:           8
        .value_kind:     by_value
      - .offset:         24
        .size:           4
        .value_kind:     by_value
      - .offset:         28
        .size:           1
        .value_kind:     by_value
      - .address_space:  global
        .offset:         32
        .size:           8
        .value_kind:     global_buffer
      - .offset:         40
        .size:           4
        .value_kind:     by_value
      - .address_space:  global
        .offset:         48
        .size:           8
        .value_kind:     global_buffer
      - .address_space:  global
        .offset:         56
        .size:           8
        .value_kind:     global_buffer
      - .offset:         64
        .size:           1
        .value_kind:     by_value
      - .offset:         65
        .size:           1
        .value_kind:     by_value
    .group_segment_fixed_size: 0
    .kernarg_segment_align: 8
    .kernarg_segment_size: 68
    .language:       OpenCL C
    .language_version:
      - 2
      - 0
    .max_flat_workgroup_size: 256
    .name:           _ZN7rocprim17ROCPRIM_304000_NS6detail20lookback_scan_kernelILNS1_25lookback_scan_determinismE0ELb0ENS1_19wrapped_scan_configINS0_14default_configEfEEPKfPfSt4plusIfEffNS1_19lookback_scan_stateIfLb1ELb1EEEEEvT2_T3_mT5_T4_T7_jPT6_SK_bb
    .private_segment_fixed_size: 0
    .sgpr_count:     6
    .sgpr_spill_count: 0
    .symbol:         _ZN7rocprim17ROCPRIM_304000_NS6detail20lookback_scan_kernelILNS1_25lookback_scan_determinismE0ELb0ENS1_19wrapped_scan_configINS0_14default_configEfEEPKfPfSt4plusIfEffNS1_19lookback_scan_stateIfLb1ELb1EEEEEvT2_T3_mT5_T4_T7_jPT6_SK_bb.kd
    .uniform_work_group_size: 1
    .uses_dynamic_stack: false
    .vgpr_count:     0
    .vgpr_spill_count: 0
    .wavefront_size: 64
  - .agpr_count:     0
    .args:
      - .address_space:  global
        .offset:         0
        .size:           8
        .value_kind:     global_buffer
      - .address_space:  global
        .offset:         8
        .size:           8
        .value_kind:     global_buffer
      - .offset:         16
        .size:           8
        .value_kind:     by_value
      - .offset:         24
        .size:           4
        .value_kind:     by_value
      - .offset:         28
        .size:           1
        .value_kind:     by_value
      - .address_space:  global
        .offset:         32
        .size:           8
        .value_kind:     global_buffer
      - .offset:         40
        .size:           4
        .value_kind:     by_value
      - .address_space:  global
        .offset:         48
        .size:           8
        .value_kind:     global_buffer
      - .address_space:  global
        .offset:         56
        .size:           8
        .value_kind:     global_buffer
      - .offset:         64
        .size:           1
        .value_kind:     by_value
      - .offset:         65
        .size:           1
        .value_kind:     by_value
    .group_segment_fixed_size: 14336
    .kernarg_segment_align: 8
    .kernarg_segment_size: 68
    .language:       OpenCL C
    .language_version:
      - 2
      - 0
    .max_flat_workgroup_size: 256
    .name:           _ZN7rocprim17ROCPRIM_304000_NS6detail20lookback_scan_kernelILNS1_25lookback_scan_determinismE0ELb0ENS1_19wrapped_scan_configINS0_14default_configEfEEPKfPfSt4plusIfEffNS1_19lookback_scan_stateIfLb0ELb1EEEEEvT2_T3_mT5_T4_T7_jPT6_SK_bb
    .private_segment_fixed_size: 0
    .sgpr_count:     36
    .sgpr_spill_count: 0
    .symbol:         _ZN7rocprim17ROCPRIM_304000_NS6detail20lookback_scan_kernelILNS1_25lookback_scan_determinismE0ELb0ENS1_19wrapped_scan_configINS0_14default_configEfEEPKfPfSt4plusIfEffNS1_19lookback_scan_stateIfLb0ELb1EEEEEvT2_T3_mT5_T4_T7_jPT6_SK_bb.kd
    .uniform_work_group_size: 1
    .uses_dynamic_stack: false
    .vgpr_count:     43
    .vgpr_spill_count: 0
    .wavefront_size: 64
  - .agpr_count:     0
    .args:
      - .address_space:  global
        .offset:         0
        .size:           8
        .value_kind:     global_buffer
      - .offset:         8
        .size:           8
        .value_kind:     by_value
      - .address_space:  global
        .offset:         16
        .size:           8
        .value_kind:     global_buffer
      - .offset:         24
        .size:           1
        .value_kind:     by_value
      - .offset:         32
        .size:           4
        .value_kind:     hidden_block_count_x
      - .offset:         36
        .size:           4
        .value_kind:     hidden_block_count_y
      - .offset:         40
        .size:           4
        .value_kind:     hidden_block_count_z
      - .offset:         44
        .size:           2
        .value_kind:     hidden_group_size_x
      - .offset:         46
        .size:           2
        .value_kind:     hidden_group_size_y
      - .offset:         48
        .size:           2
        .value_kind:     hidden_group_size_z
      - .offset:         50
        .size:           2
        .value_kind:     hidden_remainder_x
      - .offset:         52
        .size:           2
        .value_kind:     hidden_remainder_y
      - .offset:         54
        .size:           2
        .value_kind:     hidden_remainder_z
      - .offset:         72
        .size:           8
        .value_kind:     hidden_global_offset_x
      - .offset:         80
        .size:           8
        .value_kind:     hidden_global_offset_y
      - .offset:         88
        .size:           8
        .value_kind:     hidden_global_offset_z
      - .offset:         96
        .size:           2
        .value_kind:     hidden_grid_dims
    .group_segment_fixed_size: 0
    .kernarg_segment_align: 8
    .kernarg_segment_size: 288
    .language:       OpenCL C
    .language_version:
      - 2
      - 0
    .max_flat_workgroup_size: 128
    .name:           _ZN7rocprim17ROCPRIM_304000_NS6detail16transform_kernelINS1_24wrapped_transform_configINS0_14default_configEfEEfPfS6_NS0_8identityIfEEEEvT1_mT2_T3_
    .private_segment_fixed_size: 0
    .sgpr_count:     18
    .sgpr_spill_count: 0
    .symbol:         _ZN7rocprim17ROCPRIM_304000_NS6detail16transform_kernelINS1_24wrapped_transform_configINS0_14default_configEfEEfPfS6_NS0_8identityIfEEEEvT1_mT2_T3_.kd
    .uniform_work_group_size: 1
    .uses_dynamic_stack: false
    .vgpr_count:     10
    .vgpr_spill_count: 0
    .wavefront_size: 64
  - .agpr_count:     0
    .args:
      - .address_space:  global
        .offset:         0
        .size:           8
        .value_kind:     global_buffer
      - .offset:         8
        .size:           8
        .value_kind:     by_value
      - .offset:         16
        .size:           4
        .value_kind:     by_value
      - .address_space:  global
        .offset:         24
        .size:           8
        .value_kind:     global_buffer
      - .offset:         32
        .size:           1
        .value_kind:     by_value
    .group_segment_fixed_size: 14336
    .kernarg_segment_align: 8
    .kernarg_segment_size: 36
    .language:       OpenCL C
    .language_version:
      - 2
      - 0
    .max_flat_workgroup_size: 256
    .name:           _ZN7rocprim17ROCPRIM_304000_NS6detail18single_scan_kernelILb0ENS1_19wrapped_scan_configINS0_14default_configEfEEPKfPfSt4plusIfEffEEvT1_mT4_T2_T3_
    .private_segment_fixed_size: 0
    .sgpr_count:     38
    .sgpr_spill_count: 0
    .symbol:         _ZN7rocprim17ROCPRIM_304000_NS6detail18single_scan_kernelILb0ENS1_19wrapped_scan_configINS0_14default_configEfEEPKfPfSt4plusIfEffEEvT1_mT4_T2_T3_.kd
    .uniform_work_group_size: 1
    .uses_dynamic_stack: false
    .vgpr_count:     38
    .vgpr_spill_count: 0
    .wavefront_size: 64
  - .agpr_count:     0
    .args:
      - .address_space:  global
        .offset:         0
        .size:           8
        .value_kind:     global_buffer
      - .address_space:  global
        .offset:         8
        .size:           8
        .value_kind:     global_buffer
      - .offset:         16
        .size:           4
        .value_kind:     by_value
      - .offset:         20
        .size:           4
        .value_kind:     by_value
      - .offset:         24
        .size:           4
        .value_kind:     by_value
      - .offset:         28
        .size:           4
        .value_kind:     by_value
      - .offset:         32
        .size:           1
        .value_kind:     by_value
      - .offset:         40
        .size:           4
        .value_kind:     hidden_block_count_x
      - .offset:         44
        .size:           4
        .value_kind:     hidden_block_count_y
      - .offset:         48
        .size:           4
        .value_kind:     hidden_block_count_z
      - .offset:         52
        .size:           2
        .value_kind:     hidden_group_size_x
      - .offset:         54
        .size:           2
        .value_kind:     hidden_group_size_y
      - .offset:         56
        .size:           2
        .value_kind:     hidden_group_size_z
      - .offset:         58
        .size:           2
        .value_kind:     hidden_remainder_x
      - .offset:         60
        .size:           2
        .value_kind:     hidden_remainder_y
      - .offset:         62
        .size:           2
        .value_kind:     hidden_remainder_z
      - .offset:         80
        .size:           8
        .value_kind:     hidden_global_offset_x
      - .offset:         88
        .size:           8
        .value_kind:     hidden_global_offset_y
      - .offset:         96
        .size:           8
        .value_kind:     hidden_global_offset_z
      - .offset:         104
        .size:           2
        .value_kind:     hidden_grid_dims
      - .offset:         160
        .size:           4
        .value_kind:     hidden_dynamic_lds_size
    .group_segment_fixed_size: 0
    .kernarg_segment_align: 8
    .kernarg_segment_size: 296
    .language:       OpenCL C
    .language_version:
      - 2
      - 0
    .max_flat_workgroup_size: 1024
    .name:           _ZN2at6native32tensor_kernel_scan_innermost_dimIfSt4plusIfEEEvPT_PKS4_jjjS4_T0_
    .private_segment_fixed_size: 0
    .sgpr_count:     40
    .sgpr_spill_count: 0
    .symbol:         _ZN2at6native32tensor_kernel_scan_innermost_dimIfSt4plusIfEEEvPT_PKS4_jjjS4_T0_.kd
    .uniform_work_group_size: 1
    .uses_dynamic_stack: false
    .vgpr_count:     24
    .vgpr_spill_count: 0
    .wavefront_size: 64
  - .agpr_count:     0
    .args:
      - .address_space:  global
        .offset:         0
        .size:           8
        .value_kind:     global_buffer
      - .address_space:  global
        .offset:         8
        .size:           8
        .value_kind:     global_buffer
      - .offset:         16
        .size:           4
        .value_kind:     by_value
      - .offset:         20
        .size:           4
        .value_kind:     by_value
      - .offset:         24
        .size:           4
        .value_kind:     by_value
      - .offset:         28
        .size:           4
        .value_kind:     by_value
      - .offset:         32
        .size:           1
        .value_kind:     by_value
      - .offset:         40
        .size:           4
        .value_kind:     hidden_block_count_x
      - .offset:         44
        .size:           4
        .value_kind:     hidden_block_count_y
      - .offset:         48
        .size:           4
        .value_kind:     hidden_block_count_z
      - .offset:         52
        .size:           2
        .value_kind:     hidden_group_size_x
      - .offset:         54
        .size:           2
        .value_kind:     hidden_group_size_y
      - .offset:         56
        .size:           2
        .value_kind:     hidden_group_size_z
      - .offset:         58
        .size:           2
        .value_kind:     hidden_remainder_x
      - .offset:         60
        .size:           2
        .value_kind:     hidden_remainder_y
      - .offset:         62
        .size:           2
        .value_kind:     hidden_remainder_z
      - .offset:         80
        .size:           8
        .value_kind:     hidden_global_offset_x
      - .offset:         88
        .size:           8
        .value_kind:     hidden_global_offset_y
      - .offset:         96
        .size:           8
        .value_kind:     hidden_global_offset_z
      - .offset:         104
        .size:           2
        .value_kind:     hidden_grid_dims
    .group_segment_fixed_size: 0
    .kernarg_segment_align: 8
    .kernarg_segment_size: 296
    .language:       OpenCL C
    .language_version:
      - 2
      - 0
    .max_flat_workgroup_size: 1024
    .name:           _ZN2at6native28tensor_kernel_scan_outer_dimIfjSt4plusIfEEEvPT_PKS4_jjjS4_T1_
    .private_segment_fixed_size: 0
    .sgpr_count:     36
    .sgpr_spill_count: 0
    .symbol:         _ZN2at6native28tensor_kernel_scan_outer_dimIfjSt4plusIfEEEvPT_PKS4_jjjS4_T1_.kd
    .uniform_work_group_size: 1
    .uses_dynamic_stack: false
    .vgpr_count:     9
    .vgpr_spill_count: 0
    .wavefront_size: 64
  - .agpr_count:     0
    .args:
      - .address_space:  global
        .offset:         0
        .size:           8
        .value_kind:     global_buffer
      - .address_space:  global
        .offset:         8
        .size:           8
        .value_kind:     global_buffer
      - .offset:         16
        .size:           4
        .value_kind:     by_value
      - .offset:         20
        .size:           4
        .value_kind:     by_value
      - .offset:         24
        .size:           4
        .value_kind:     by_value
      - .offset:         28
        .size:           4
        .value_kind:     by_value
      - .offset:         32
        .size:           1
        .value_kind:     by_value
      - .offset:         40
        .size:           4
        .value_kind:     hidden_block_count_x
      - .offset:         44
        .size:           4
        .value_kind:     hidden_block_count_y
      - .offset:         48
        .size:           4
        .value_kind:     hidden_block_count_z
      - .offset:         52
        .size:           2
        .value_kind:     hidden_group_size_x
      - .offset:         54
        .size:           2
        .value_kind:     hidden_group_size_y
      - .offset:         56
        .size:           2
        .value_kind:     hidden_group_size_z
      - .offset:         58
        .size:           2
        .value_kind:     hidden_remainder_x
      - .offset:         60
        .size:           2
        .value_kind:     hidden_remainder_y
      - .offset:         62
        .size:           2
        .value_kind:     hidden_remainder_z
      - .offset:         80
        .size:           8
        .value_kind:     hidden_global_offset_x
      - .offset:         88
        .size:           8
        .value_kind:     hidden_global_offset_y
      - .offset:         96
        .size:           8
        .value_kind:     hidden_global_offset_z
      - .offset:         104
        .size:           2
        .value_kind:     hidden_grid_dims
    .group_segment_fixed_size: 0
    .kernarg_segment_align: 8
    .kernarg_segment_size: 296
    .language:       OpenCL C
    .language_version:
      - 2
      - 0
    .max_flat_workgroup_size: 1024
    .name:           _ZN2at6native28tensor_kernel_scan_outer_dimIfmSt4plusIfEEEvPT_PKS4_jjjS4_T1_
    .private_segment_fixed_size: 0
    .sgpr_count:     35
    .sgpr_spill_count: 0
    .symbol:         _ZN2at6native28tensor_kernel_scan_outer_dimIfmSt4plusIfEEEvPT_PKS4_jjjS4_T1_.kd
    .uniform_work_group_size: 1
    .uses_dynamic_stack: false
    .vgpr_count:     9
    .vgpr_spill_count: 0
    .wavefront_size: 64
  - .agpr_count:     0
    .args:
      - .address_space:  global
        .offset:         0
        .size:           8
        .value_kind:     global_buffer
      - .address_space:  global
        .offset:         8
        .size:           8
        .value_kind:     global_buffer
      - .offset:         16
        .size:           8
        .value_kind:     by_value
      - .offset:         24
        .size:           4
        .value_kind:     by_value
    .group_segment_fixed_size: 32
    .kernarg_segment_align: 8
    .kernarg_segment_size: 28
    .language:       OpenCL C
    .language_version:
      - 2
      - 0
    .max_flat_workgroup_size: 1024
    .name:           _ZN2at4cuda3cub15calc_block_sumsILi128ELi16ELb0EN3c107complexIdEES5_EEvPKT2_PT3_li
    .private_segment_fixed_size: 0
    .sgpr_count:     21
    .sgpr_spill_count: 0
    .symbol:         _ZN2at4cuda3cub15calc_block_sumsILi128ELi16ELb0EN3c107complexIdEES5_EEvPKT2_PT3_li.kd
    .uniform_work_group_size: 1
    .uses_dynamic_stack: false
    .vgpr_count:     78
    .vgpr_spill_count: 0
    .wavefront_size: 64
  - .agpr_count:     0
    .args:
      - .address_space:  global
        .offset:         0
        .size:           8
        .value_kind:     global_buffer
      - .address_space:  global
        .offset:         8
        .size:           8
        .value_kind:     global_buffer
      - .address_space:  global
        .offset:         16
        .size:           8
        .value_kind:     global_buffer
      - .offset:         24
        .size:           8
        .value_kind:     by_value
      - .offset:         32
        .size:           4
        .value_kind:     by_value
      - .offset:         40
        .size:           4
        .value_kind:     hidden_block_count_x
      - .offset:         44
        .size:           4
        .value_kind:     hidden_block_count_y
      - .offset:         48
        .size:           4
        .value_kind:     hidden_block_count_z
      - .offset:         52
        .size:           2
        .value_kind:     hidden_group_size_x
      - .offset:         54
        .size:           2
        .value_kind:     hidden_group_size_y
      - .offset:         56
        .size:           2
        .value_kind:     hidden_group_size_z
      - .offset:         58
        .size:           2
        .value_kind:     hidden_remainder_x
      - .offset:         60
        .size:           2
        .value_kind:     hidden_remainder_y
      - .offset:         62
        .size:           2
        .value_kind:     hidden_remainder_z
      - .offset:         80
        .size:           8
        .value_kind:     hidden_global_offset_x
      - .offset:         88
        .size:           8
        .value_kind:     hidden_global_offset_y
      - .offset:         96
        .size:           8
        .value_kind:     hidden_global_offset_z
      - .offset:         104
        .size:           2
        .value_kind:     hidden_grid_dims
    .group_segment_fixed_size: 33792
    .kernarg_segment_align: 8
    .kernarg_segment_size: 296
    .language:       OpenCL C
    .language_version:
      - 2
      - 0
    .max_flat_workgroup_size: 1024
    .name:           _ZN2at4cuda3cub17final_scan_kernelILi128ELi16EN3c107complexIdEEEEvPKT1_PS6_S9_li
    .private_segment_fixed_size: 220
    .sgpr_count:     50
    .sgpr_spill_count: 0
    .symbol:         _ZN2at4cuda3cub17final_scan_kernelILi128ELi16EN3c107complexIdEEEEvPKT1_PS6_S9_li.kd
    .uniform_work_group_size: 1
    .uses_dynamic_stack: false
    .vgpr_count:     128
    .vgpr_spill_count: 64
    .wavefront_size: 64
  - .agpr_count:     0
    .args:
      - .offset:         0
        .size:           24
        .value_kind:     by_value
      - .offset:         24
        .size:           4
        .value_kind:     by_value
      - .offset:         28
        .size:           4
        .value_kind:     by_value
      - .address_space:  global
        .offset:         32
        .size:           8
        .value_kind:     global_buffer
      - .offset:         40
        .size:           4
        .value_kind:     hidden_block_count_x
      - .offset:         44
        .size:           4
        .value_kind:     hidden_block_count_y
      - .offset:         48
        .size:           4
        .value_kind:     hidden_block_count_z
      - .offset:         52
        .size:           2
        .value_kind:     hidden_group_size_x
      - .offset:         54
        .size:           2
        .value_kind:     hidden_group_size_y
      - .offset:         56
        .size:           2
        .value_kind:     hidden_group_size_z
      - .offset:         58
        .size:           2
        .value_kind:     hidden_remainder_x
      - .offset:         60
        .size:           2
        .value_kind:     hidden_remainder_y
      - .offset:         62
        .size:           2
        .value_kind:     hidden_remainder_z
      - .offset:         80
        .size:           8
        .value_kind:     hidden_global_offset_x
      - .offset:         88
        .size:           8
        .value_kind:     hidden_global_offset_y
      - .offset:         96
        .size:           8
        .value_kind:     hidden_global_offset_z
      - .offset:         104
        .size:           2
        .value_kind:     hidden_grid_dims
    .group_segment_fixed_size: 0
    .kernarg_segment_align: 8
    .kernarg_segment_size: 296
    .language:       OpenCL C
    .language_version:
      - 2
      - 0
    .max_flat_workgroup_size: 256
    .name:           _ZN7rocprim17ROCPRIM_304000_NS6detail31init_lookback_scan_state_kernelINS1_19lookback_scan_stateIN3c107complexIdEELb1ELb0EEEEEvT_jjPNS8_10value_typeE
    .private_segment_fixed_size: 0
    .sgpr_count:     24
    .sgpr_spill_count: 0
    .symbol:         _ZN7rocprim17ROCPRIM_304000_NS6detail31init_lookback_scan_state_kernelINS1_19lookback_scan_stateIN3c107complexIdEELb1ELb0EEEEEvT_jjPNS8_10value_typeE.kd
    .uniform_work_group_size: 1
    .uses_dynamic_stack: false
    .vgpr_count:     6
    .vgpr_spill_count: 0
    .wavefront_size: 64
  - .agpr_count:     0
    .args:
      - .offset:         0
        .size:           24
        .value_kind:     by_value
      - .offset:         24
        .size:           4
        .value_kind:     by_value
      - .offset:         28
        .size:           4
        .value_kind:     by_value
      - .address_space:  global
        .offset:         32
        .size:           8
        .value_kind:     global_buffer
      - .offset:         40
        .size:           4
        .value_kind:     hidden_block_count_x
      - .offset:         44
        .size:           4
        .value_kind:     hidden_block_count_y
      - .offset:         48
        .size:           4
        .value_kind:     hidden_block_count_z
      - .offset:         52
        .size:           2
        .value_kind:     hidden_group_size_x
      - .offset:         54
        .size:           2
        .value_kind:     hidden_group_size_y
      - .offset:         56
        .size:           2
        .value_kind:     hidden_group_size_z
      - .offset:         58
        .size:           2
        .value_kind:     hidden_remainder_x
      - .offset:         60
        .size:           2
        .value_kind:     hidden_remainder_y
      - .offset:         62
        .size:           2
        .value_kind:     hidden_remainder_z
      - .offset:         80
        .size:           8
        .value_kind:     hidden_global_offset_x
      - .offset:         88
        .size:           8
        .value_kind:     hidden_global_offset_y
      - .offset:         96
        .size:           8
        .value_kind:     hidden_global_offset_z
      - .offset:         104
        .size:           2
        .value_kind:     hidden_grid_dims
    .group_segment_fixed_size: 0
    .kernarg_segment_align: 8
    .kernarg_segment_size: 296
    .language:       OpenCL C
    .language_version:
      - 2
      - 0
    .max_flat_workgroup_size: 256
    .name:           _ZN7rocprim17ROCPRIM_304000_NS6detail31init_lookback_scan_state_kernelINS1_19lookback_scan_stateIN3c107complexIdEELb0ELb0EEEEEvT_jjPNS8_10value_typeE
    .private_segment_fixed_size: 0
    .sgpr_count:     24
    .sgpr_spill_count: 0
    .symbol:         _ZN7rocprim17ROCPRIM_304000_NS6detail31init_lookback_scan_state_kernelINS1_19lookback_scan_stateIN3c107complexIdEELb0ELb0EEEEEvT_jjPNS8_10value_typeE.kd
    .uniform_work_group_size: 1
    .uses_dynamic_stack: false
    .vgpr_count:     6
    .vgpr_spill_count: 0
    .wavefront_size: 64
  - .agpr_count:     0
    .args:
      - .address_space:  global
        .offset:         0
        .size:           8
        .value_kind:     global_buffer
      - .address_space:  global
        .offset:         8
        .size:           8
        .value_kind:     global_buffer
      - .offset:         16
        .size:           8
        .value_kind:     by_value
      - .offset:         32
        .size:           16
        .value_kind:     by_value
      - .offset:         48
        .size:           1
        .value_kind:     by_value
      - .offset:         56
        .size:           24
        .value_kind:     by_value
      - .offset:         80
        .size:           4
        .value_kind:     by_value
      - .address_space:  global
        .offset:         88
        .size:           8
        .value_kind:     global_buffer
      - .address_space:  global
        .offset:         96
        .size:           8
        .value_kind:     global_buffer
      - .offset:         104
        .size:           1
        .value_kind:     by_value
      - .offset:         105
        .size:           1
        .value_kind:     by_value
    .group_segment_fixed_size: 0
    .kernarg_segment_align: 16
    .kernarg_segment_size: 108
    .language:       OpenCL C
    .language_version:
      - 2
      - 0
    .max_flat_workgroup_size: 128
    .name:           _ZN7rocprim17ROCPRIM_304000_NS6detail20lookback_scan_kernelILNS1_25lookback_scan_determinismE0ELb0ENS1_19wrapped_scan_configINS0_14default_configEN3c107complexIdEEEEPKS8_PS8_St4plusIS8_ES8_S8_NS1_19lookback_scan_stateIS8_Lb1ELb0EEEEEvT2_T3_mT5_T4_T7_jPT6_SN_bb
    .private_segment_fixed_size: 0
    .sgpr_count:     6
    .sgpr_spill_count: 0
    .symbol:         _ZN7rocprim17ROCPRIM_304000_NS6detail20lookback_scan_kernelILNS1_25lookback_scan_determinismE0ELb0ENS1_19wrapped_scan_configINS0_14default_configEN3c107complexIdEEEEPKS8_PS8_St4plusIS8_ES8_S8_NS1_19lookback_scan_stateIS8_Lb1ELb0EEEEEvT2_T3_mT5_T4_T7_jPT6_SN_bb.kd
    .uniform_work_group_size: 1
    .uses_dynamic_stack: false
    .vgpr_count:     0
    .vgpr_spill_count: 0
    .wavefront_size: 64
  - .agpr_count:     0
    .args:
      - .address_space:  global
        .offset:         0
        .size:           8
        .value_kind:     global_buffer
      - .address_space:  global
        .offset:         8
        .size:           8
        .value_kind:     global_buffer
      - .offset:         16
        .size:           8
        .value_kind:     by_value
      - .offset:         32
        .size:           16
        .value_kind:     by_value
      - .offset:         48
        .size:           1
        .value_kind:     by_value
      - .offset:         56
        .size:           24
        .value_kind:     by_value
      - .offset:         80
        .size:           4
        .value_kind:     by_value
      - .address_space:  global
        .offset:         88
        .size:           8
        .value_kind:     global_buffer
      - .address_space:  global
        .offset:         96
        .size:           8
        .value_kind:     global_buffer
      - .offset:         104
        .size:           1
        .value_kind:     by_value
      - .offset:         105
        .size:           1
        .value_kind:     by_value
    .group_segment_fixed_size: 20480
    .kernarg_segment_align: 16
    .kernarg_segment_size: 108
    .language:       OpenCL C
    .language_version:
      - 2
      - 0
    .max_flat_workgroup_size: 128
    .name:           _ZN7rocprim17ROCPRIM_304000_NS6detail20lookback_scan_kernelILNS1_25lookback_scan_determinismE0ELb0ENS1_19wrapped_scan_configINS0_14default_configEN3c107complexIdEEEEPKS8_PS8_St4plusIS8_ES8_S8_NS1_19lookback_scan_stateIS8_Lb0ELb0EEEEEvT2_T3_mT5_T4_T7_jPT6_SN_bb
    .private_segment_fixed_size: 0
    .sgpr_count:     34
    .sgpr_spill_count: 0
    .symbol:         _ZN7rocprim17ROCPRIM_304000_NS6detail20lookback_scan_kernelILNS1_25lookback_scan_determinismE0ELb0ENS1_19wrapped_scan_configINS0_14default_configEN3c107complexIdEEEEPKS8_PS8_St4plusIS8_ES8_S8_NS1_19lookback_scan_stateIS8_Lb0ELb0EEEEEvT2_T3_mT5_T4_T7_jPT6_SN_bb.kd
    .uniform_work_group_size: 1
    .uses_dynamic_stack: false
    .vgpr_count:     95
    .vgpr_spill_count: 0
    .wavefront_size: 64
  - .agpr_count:     0
    .args:
      - .address_space:  global
        .offset:         0
        .size:           8
        .value_kind:     global_buffer
      - .offset:         8
        .size:           8
        .value_kind:     by_value
      - .address_space:  global
        .offset:         16
        .size:           8
        .value_kind:     global_buffer
      - .offset:         24
        .size:           1
        .value_kind:     by_value
      - .offset:         32
        .size:           4
        .value_kind:     hidden_block_count_x
      - .offset:         36
        .size:           4
        .value_kind:     hidden_block_count_y
      - .offset:         40
        .size:           4
        .value_kind:     hidden_block_count_z
      - .offset:         44
        .size:           2
        .value_kind:     hidden_group_size_x
      - .offset:         46
        .size:           2
        .value_kind:     hidden_group_size_y
      - .offset:         48
        .size:           2
        .value_kind:     hidden_group_size_z
      - .offset:         50
        .size:           2
        .value_kind:     hidden_remainder_x
      - .offset:         52
        .size:           2
        .value_kind:     hidden_remainder_y
      - .offset:         54
        .size:           2
        .value_kind:     hidden_remainder_z
      - .offset:         72
        .size:           8
        .value_kind:     hidden_global_offset_x
      - .offset:         80
        .size:           8
        .value_kind:     hidden_global_offset_y
      - .offset:         88
        .size:           8
        .value_kind:     hidden_global_offset_z
      - .offset:         96
        .size:           2
        .value_kind:     hidden_grid_dims
    .group_segment_fixed_size: 0
    .kernarg_segment_align: 8
    .kernarg_segment_size: 288
    .language:       OpenCL C
    .language_version:
      - 2
      - 0
    .max_flat_workgroup_size: 128
    .name:           _ZN7rocprim17ROCPRIM_304000_NS6detail16transform_kernelINS1_24wrapped_transform_configINS0_14default_configEN3c107complexIdEEEES7_PS7_S9_NS0_8identityIS7_EEEEvT1_mT2_T3_
    .private_segment_fixed_size: 0
    .sgpr_count:     16
    .sgpr_spill_count: 0
    .symbol:         _ZN7rocprim17ROCPRIM_304000_NS6detail16transform_kernelINS1_24wrapped_transform_configINS0_14default_configEN3c107complexIdEEEES7_PS7_S9_NS0_8identityIS7_EEEEvT1_mT2_T3_.kd
    .uniform_work_group_size: 1
    .uses_dynamic_stack: false
    .vgpr_count:     5
    .vgpr_spill_count: 0
    .wavefront_size: 64
  - .agpr_count:     0
    .args:
      - .address_space:  global
        .offset:         0
        .size:           8
        .value_kind:     global_buffer
      - .offset:         8
        .size:           8
        .value_kind:     by_value
      - .offset:         16
        .size:           16
        .value_kind:     by_value
      - .address_space:  global
        .offset:         32
        .size:           8
        .value_kind:     global_buffer
      - .offset:         40
        .size:           1
        .value_kind:     by_value
    .group_segment_fixed_size: 20480
    .kernarg_segment_align: 16
    .kernarg_segment_size: 44
    .language:       OpenCL C
    .language_version:
      - 2
      - 0
    .max_flat_workgroup_size: 128
    .name:           _ZN7rocprim17ROCPRIM_304000_NS6detail18single_scan_kernelILb0ENS1_19wrapped_scan_configINS0_14default_configEN3c107complexIdEEEEPKS7_PS7_St4plusIS7_ES7_S7_EEvT1_mT4_T2_T3_
    .private_segment_fixed_size: 0
    .sgpr_count:     34
    .sgpr_spill_count: 0
    .symbol:         _ZN7rocprim17ROCPRIM_304000_NS6detail18single_scan_kernelILb0ENS1_19wrapped_scan_configINS0_14default_configEN3c107complexIdEEEEPKS7_PS7_St4plusIS7_ES7_S7_EEvT1_mT4_T2_T3_.kd
    .uniform_work_group_size: 1
    .uses_dynamic_stack: false
    .vgpr_count:     93
    .vgpr_spill_count: 0
    .wavefront_size: 64
  - .agpr_count:     0
    .args:
      - .address_space:  global
        .offset:         0
        .size:           8
        .value_kind:     global_buffer
      - .address_space:  global
        .offset:         8
        .size:           8
        .value_kind:     global_buffer
      - .offset:         16
        .size:           4
        .value_kind:     by_value
      - .offset:         20
        .size:           4
        .value_kind:     by_value
      - .offset:         24
        .size:           4
        .value_kind:     by_value
      - .offset:         32
        .size:           16
        .value_kind:     by_value
      - .offset:         48
        .size:           1
        .value_kind:     by_value
      - .offset:         56
        .size:           4
        .value_kind:     hidden_block_count_x
      - .offset:         60
        .size:           4
        .value_kind:     hidden_block_count_y
      - .offset:         64
        .size:           4
        .value_kind:     hidden_block_count_z
      - .offset:         68
        .size:           2
        .value_kind:     hidden_group_size_x
      - .offset:         70
        .size:           2
        .value_kind:     hidden_group_size_y
      - .offset:         72
        .size:           2
        .value_kind:     hidden_group_size_z
      - .offset:         74
        .size:           2
        .value_kind:     hidden_remainder_x
      - .offset:         76
        .size:           2
        .value_kind:     hidden_remainder_y
      - .offset:         78
        .size:           2
        .value_kind:     hidden_remainder_z
      - .offset:         96
        .size:           8
        .value_kind:     hidden_global_offset_x
      - .offset:         104
        .size:           8
        .value_kind:     hidden_global_offset_y
      - .offset:         112
        .size:           8
        .value_kind:     hidden_global_offset_z
      - .offset:         120
        .size:           2
        .value_kind:     hidden_grid_dims
      - .offset:         176
        .size:           4
        .value_kind:     hidden_dynamic_lds_size
    .group_segment_fixed_size: 0
    .kernarg_segment_align: 16
    .kernarg_segment_size: 312
    .language:       OpenCL C
    .language_version:
      - 2
      - 0
    .max_flat_workgroup_size: 1024
    .name:           _ZN2at6native32tensor_kernel_scan_innermost_dimIN3c107complexIdEESt4plusIS4_EEEvPT_PKS7_jjjS7_T0_
    .private_segment_fixed_size: 0
    .sgpr_count:     43
    .sgpr_spill_count: 0
    .symbol:         _ZN2at6native32tensor_kernel_scan_innermost_dimIN3c107complexIdEESt4plusIS4_EEEvPT_PKS7_jjjS7_T0_.kd
    .uniform_work_group_size: 1
    .uses_dynamic_stack: false
    .vgpr_count:     28
    .vgpr_spill_count: 0
    .wavefront_size: 64
  - .agpr_count:     0
    .args:
      - .address_space:  global
        .offset:         0
        .size:           8
        .value_kind:     global_buffer
      - .address_space:  global
        .offset:         8
        .size:           8
        .value_kind:     global_buffer
      - .offset:         16
        .size:           4
        .value_kind:     by_value
      - .offset:         20
        .size:           4
        .value_kind:     by_value
      - .offset:         24
        .size:           4
        .value_kind:     by_value
      - .offset:         32
        .size:           16
        .value_kind:     by_value
      - .offset:         48
        .size:           1
        .value_kind:     by_value
      - .offset:         56
        .size:           4
        .value_kind:     hidden_block_count_x
      - .offset:         60
        .size:           4
        .value_kind:     hidden_block_count_y
      - .offset:         64
        .size:           4
        .value_kind:     hidden_block_count_z
      - .offset:         68
        .size:           2
        .value_kind:     hidden_group_size_x
      - .offset:         70
        .size:           2
        .value_kind:     hidden_group_size_y
      - .offset:         72
        .size:           2
        .value_kind:     hidden_group_size_z
      - .offset:         74
        .size:           2
        .value_kind:     hidden_remainder_x
      - .offset:         76
        .size:           2
        .value_kind:     hidden_remainder_y
      - .offset:         78
        .size:           2
        .value_kind:     hidden_remainder_z
      - .offset:         96
        .size:           8
        .value_kind:     hidden_global_offset_x
      - .offset:         104
        .size:           8
        .value_kind:     hidden_global_offset_y
      - .offset:         112
        .size:           8
        .value_kind:     hidden_global_offset_z
      - .offset:         120
        .size:           2
        .value_kind:     hidden_grid_dims
    .group_segment_fixed_size: 0
    .kernarg_segment_align: 16
    .kernarg_segment_size: 312
    .language:       OpenCL C
    .language_version:
      - 2
      - 0
    .max_flat_workgroup_size: 1024
    .name:           _ZN2at6native28tensor_kernel_scan_outer_dimIN3c107complexIdEEjSt4plusIS4_EEEvPT_PKS7_jjjS7_T1_
    .private_segment_fixed_size: 0
    .sgpr_count:     40
    .sgpr_spill_count: 0
    .symbol:         _ZN2at6native28tensor_kernel_scan_outer_dimIN3c107complexIdEEjSt4plusIS4_EEEvPT_PKS7_jjjS7_T1_.kd
    .uniform_work_group_size: 1
    .uses_dynamic_stack: false
    .vgpr_count:     16
    .vgpr_spill_count: 0
    .wavefront_size: 64
  - .agpr_count:     0
    .args:
      - .address_space:  global
        .offset:         0
        .size:           8
        .value_kind:     global_buffer
      - .address_space:  global
        .offset:         8
        .size:           8
        .value_kind:     global_buffer
      - .offset:         16
        .size:           4
        .value_kind:     by_value
      - .offset:         20
        .size:           4
        .value_kind:     by_value
      - .offset:         24
        .size:           4
        .value_kind:     by_value
      - .offset:         32
        .size:           16
        .value_kind:     by_value
      - .offset:         48
        .size:           1
        .value_kind:     by_value
      - .offset:         56
        .size:           4
        .value_kind:     hidden_block_count_x
      - .offset:         60
        .size:           4
        .value_kind:     hidden_block_count_y
      - .offset:         64
        .size:           4
        .value_kind:     hidden_block_count_z
      - .offset:         68
        .size:           2
        .value_kind:     hidden_group_size_x
      - .offset:         70
        .size:           2
        .value_kind:     hidden_group_size_y
      - .offset:         72
        .size:           2
        .value_kind:     hidden_group_size_z
      - .offset:         74
        .size:           2
        .value_kind:     hidden_remainder_x
      - .offset:         76
        .size:           2
        .value_kind:     hidden_remainder_y
      - .offset:         78
        .size:           2
        .value_kind:     hidden_remainder_z
      - .offset:         96
        .size:           8
        .value_kind:     hidden_global_offset_x
      - .offset:         104
        .size:           8
        .value_kind:     hidden_global_offset_y
      - .offset:         112
        .size:           8
        .value_kind:     hidden_global_offset_z
      - .offset:         120
        .size:           2
        .value_kind:     hidden_grid_dims
    .group_segment_fixed_size: 0
    .kernarg_segment_align: 16
    .kernarg_segment_size: 312
    .language:       OpenCL C
    .language_version:
      - 2
      - 0
    .max_flat_workgroup_size: 1024
    .name:           _ZN2at6native28tensor_kernel_scan_outer_dimIN3c107complexIdEEmSt4plusIS4_EEEvPT_PKS7_jjjS7_T1_
    .private_segment_fixed_size: 0
    .sgpr_count:     38
    .sgpr_spill_count: 0
    .symbol:         _ZN2at6native28tensor_kernel_scan_outer_dimIN3c107complexIdEEmSt4plusIS4_EEEvPT_PKS7_jjjS7_T1_.kd
    .uniform_work_group_size: 1
    .uses_dynamic_stack: false
    .vgpr_count:     16
    .vgpr_spill_count: 0
    .wavefront_size: 64
  - .agpr_count:     0
    .args:
      - .address_space:  global
        .offset:         0
        .size:           8
        .value_kind:     global_buffer
      - .address_space:  global
        .offset:         8
        .size:           8
        .value_kind:     global_buffer
      - .offset:         16
        .size:           8
        .value_kind:     by_value
      - .offset:         24
        .size:           4
        .value_kind:     by_value
    .group_segment_fixed_size: 32
    .kernarg_segment_align: 8
    .kernarg_segment_size: 28
    .language:       OpenCL C
    .language_version:
      - 2
      - 0
    .max_flat_workgroup_size: 1024
    .name:           _ZN2at4cuda3cub15calc_block_sumsILi256ELi16ELb0EN3c107complexIfEES5_EEvPKT2_PT3_li
    .private_segment_fixed_size: 0
    .sgpr_count:     21
    .sgpr_spill_count: 0
    .symbol:         _ZN2at4cuda3cub15calc_block_sumsILi256ELi16ELb0EN3c107complexIfEES5_EEvPKT2_PT3_li.kd
    .uniform_work_group_size: 1
    .uses_dynamic_stack: false
    .vgpr_count:     60
    .vgpr_spill_count: 0
    .wavefront_size: 64
  - .agpr_count:     0
    .args:
      - .address_space:  global
        .offset:         0
        .size:           8
        .value_kind:     global_buffer
      - .address_space:  global
        .offset:         8
        .size:           8
        .value_kind:     global_buffer
      - .address_space:  global
        .offset:         16
        .size:           8
        .value_kind:     global_buffer
      - .offset:         24
        .size:           8
        .value_kind:     by_value
      - .offset:         32
        .size:           4
        .value_kind:     by_value
      - .offset:         40
        .size:           4
        .value_kind:     hidden_block_count_x
      - .offset:         44
        .size:           4
        .value_kind:     hidden_block_count_y
      - .offset:         48
        .size:           4
        .value_kind:     hidden_block_count_z
      - .offset:         52
        .size:           2
        .value_kind:     hidden_group_size_x
      - .offset:         54
        .size:           2
        .value_kind:     hidden_group_size_y
      - .offset:         56
        .size:           2
        .value_kind:     hidden_group_size_z
      - .offset:         58
        .size:           2
        .value_kind:     hidden_remainder_x
      - .offset:         60
        .size:           2
        .value_kind:     hidden_remainder_y
      - .offset:         62
        .size:           2
        .value_kind:     hidden_remainder_z
      - .offset:         80
        .size:           8
        .value_kind:     hidden_global_offset_x
      - .offset:         88
        .size:           8
        .value_kind:     hidden_global_offset_y
      - .offset:         96
        .size:           8
        .value_kind:     hidden_global_offset_z
      - .offset:         104
        .size:           2
        .value_kind:     hidden_grid_dims
    .group_segment_fixed_size: 33792
    .kernarg_segment_align: 8
    .kernarg_segment_size: 296
    .language:       OpenCL C
    .language_version:
      - 2
      - 0
    .max_flat_workgroup_size: 1024
    .name:           _ZN2at4cuda3cub17final_scan_kernelILi256ELi16EN3c107complexIfEEEEvPKT1_PS6_S9_li
    .private_segment_fixed_size: 0
    .sgpr_count:     50
    .sgpr_spill_count: 0
    .symbol:         _ZN2at4cuda3cub17final_scan_kernelILi256ELi16EN3c107complexIfEEEEvPKT1_PS6_S9_li.kd
    .uniform_work_group_size: 1
    .uses_dynamic_stack: false
    .vgpr_count:     118
    .vgpr_spill_count: 0
    .wavefront_size: 64
  - .agpr_count:     0
    .args:
      - .address_space:  global
        .offset:         0
        .size:           8
        .value_kind:     global_buffer
      - .offset:         8
        .size:           4
        .value_kind:     by_value
      - .offset:         12
        .size:           4
        .value_kind:     by_value
      - .address_space:  global
        .offset:         16
        .size:           8
        .value_kind:     global_buffer
      - .offset:         24
        .size:           4
        .value_kind:     hidden_block_count_x
      - .offset:         28
        .size:           4
        .value_kind:     hidden_block_count_y
      - .offset:         32
        .size:           4
        .value_kind:     hidden_block_count_z
      - .offset:         36
        .size:           2
        .value_kind:     hidden_group_size_x
      - .offset:         38
        .size:           2
        .value_kind:     hidden_group_size_y
      - .offset:         40
        .size:           2
        .value_kind:     hidden_group_size_z
      - .offset:         42
        .size:           2
        .value_kind:     hidden_remainder_x
      - .offset:         44
        .size:           2
        .value_kind:     hidden_remainder_y
      - .offset:         46
        .size:           2
        .value_kind:     hidden_remainder_z
      - .offset:         64
        .size:           8
        .value_kind:     hidden_global_offset_x
      - .offset:         72
        .size:           8
        .value_kind:     hidden_global_offset_y
      - .offset:         80
        .size:           8
        .value_kind:     hidden_global_offset_z
      - .offset:         88
        .size:           2
        .value_kind:     hidden_grid_dims
    .group_segment_fixed_size: 0
    .kernarg_segment_align: 8
    .kernarg_segment_size: 280
    .language:       OpenCL C
    .language_version:
      - 2
      - 0
    .max_flat_workgroup_size: 256
    .name:           _ZN7rocprim17ROCPRIM_304000_NS6detail31init_lookback_scan_state_kernelINS1_19lookback_scan_stateIN3c107complexIfEELb1ELb1EEEEEvT_jjPNS8_10value_typeE
    .private_segment_fixed_size: 0
    .sgpr_count:     20
    .sgpr_spill_count: 0
    .symbol:         _ZN7rocprim17ROCPRIM_304000_NS6detail31init_lookback_scan_state_kernelINS1_19lookback_scan_stateIN3c107complexIfEELb1ELb1EEEEEvT_jjPNS8_10value_typeE.kd
    .uniform_work_group_size: 1
    .uses_dynamic_stack: false
    .vgpr_count:     10
    .vgpr_spill_count: 0
    .wavefront_size: 64
  - .agpr_count:     0
    .args:
      - .address_space:  global
        .offset:         0
        .size:           8
        .value_kind:     global_buffer
      - .offset:         8
        .size:           4
        .value_kind:     by_value
      - .offset:         12
        .size:           4
        .value_kind:     by_value
      - .address_space:  global
        .offset:         16
        .size:           8
        .value_kind:     global_buffer
      - .offset:         24
        .size:           4
        .value_kind:     hidden_block_count_x
      - .offset:         28
        .size:           4
        .value_kind:     hidden_block_count_y
      - .offset:         32
        .size:           4
        .value_kind:     hidden_block_count_z
      - .offset:         36
        .size:           2
        .value_kind:     hidden_group_size_x
      - .offset:         38
        .size:           2
        .value_kind:     hidden_group_size_y
      - .offset:         40
        .size:           2
        .value_kind:     hidden_group_size_z
      - .offset:         42
        .size:           2
        .value_kind:     hidden_remainder_x
      - .offset:         44
        .size:           2
        .value_kind:     hidden_remainder_y
      - .offset:         46
        .size:           2
        .value_kind:     hidden_remainder_z
      - .offset:         64
        .size:           8
        .value_kind:     hidden_global_offset_x
      - .offset:         72
        .size:           8
        .value_kind:     hidden_global_offset_y
      - .offset:         80
        .size:           8
        .value_kind:     hidden_global_offset_z
      - .offset:         88
        .size:           2
        .value_kind:     hidden_grid_dims
    .group_segment_fixed_size: 0
    .kernarg_segment_align: 8
    .kernarg_segment_size: 280
    .language:       OpenCL C
    .language_version:
      - 2
      - 0
    .max_flat_workgroup_size: 256
    .name:           _ZN7rocprim17ROCPRIM_304000_NS6detail31init_lookback_scan_state_kernelINS1_19lookback_scan_stateIN3c107complexIfEELb0ELb1EEEEEvT_jjPNS8_10value_typeE
    .private_segment_fixed_size: 0
    .sgpr_count:     20
    .sgpr_spill_count: 0
    .symbol:         _ZN7rocprim17ROCPRIM_304000_NS6detail31init_lookback_scan_state_kernelINS1_19lookback_scan_stateIN3c107complexIfEELb0ELb1EEEEEvT_jjPNS8_10value_typeE.kd
    .uniform_work_group_size: 1
    .uses_dynamic_stack: false
    .vgpr_count:     10
    .vgpr_spill_count: 0
    .wavefront_size: 64
  - .agpr_count:     0
    .args:
      - .address_space:  global
        .offset:         0
        .size:           8
        .value_kind:     global_buffer
      - .address_space:  global
        .offset:         8
        .size:           8
        .value_kind:     global_buffer
      - .offset:         16
        .size:           8
        .value_kind:     by_value
      - .offset:         24
        .size:           8
        .value_kind:     by_value
      - .offset:         32
        .size:           1
        .value_kind:     by_value
      - .address_space:  global
        .offset:         40
        .size:           8
        .value_kind:     global_buffer
      - .offset:         48
        .size:           4
        .value_kind:     by_value
      - .address_space:  global
        .offset:         56
        .size:           8
        .value_kind:     global_buffer
      - .address_space:  global
        .offset:         64
        .size:           8
        .value_kind:     global_buffer
      - .offset:         72
        .size:           1
        .value_kind:     by_value
      - .offset:         73
        .size:           1
        .value_kind:     by_value
    .group_segment_fixed_size: 0
    .kernarg_segment_align: 8
    .kernarg_segment_size: 76
    .language:       OpenCL C
    .language_version:
      - 2
      - 0
    .max_flat_workgroup_size: 256
    .name:           _ZN7rocprim17ROCPRIM_304000_NS6detail20lookback_scan_kernelILNS1_25lookback_scan_determinismE0ELb0ENS1_19wrapped_scan_configINS0_14default_configEN3c107complexIfEEEEPKS8_PS8_St4plusIS8_ES8_S8_NS1_19lookback_scan_stateIS8_Lb1ELb1EEEEEvT2_T3_mT5_T4_T7_jPT6_SN_bb
    .private_segment_fixed_size: 0
    .sgpr_count:     6
    .sgpr_spill_count: 0
    .symbol:         _ZN7rocprim17ROCPRIM_304000_NS6detail20lookback_scan_kernelILNS1_25lookback_scan_determinismE0ELb0ENS1_19wrapped_scan_configINS0_14default_configEN3c107complexIfEEEEPKS8_PS8_St4plusIS8_ES8_S8_NS1_19lookback_scan_stateIS8_Lb1ELb1EEEEEvT2_T3_mT5_T4_T7_jPT6_SN_bb.kd
    .uniform_work_group_size: 1
    .uses_dynamic_stack: false
    .vgpr_count:     0
    .vgpr_spill_count: 0
    .wavefront_size: 64
  - .agpr_count:     0
    .args:
      - .address_space:  global
        .offset:         0
        .size:           8
        .value_kind:     global_buffer
      - .address_space:  global
        .offset:         8
        .size:           8
        .value_kind:     global_buffer
      - .offset:         16
        .size:           8
        .value_kind:     by_value
      - .offset:         24
        .size:           8
        .value_kind:     by_value
      - .offset:         32
        .size:           1
        .value_kind:     by_value
      - .address_space:  global
        .offset:         40
        .size:           8
        .value_kind:     global_buffer
      - .offset:         48
        .size:           4
        .value_kind:     by_value
      - .address_space:  global
        .offset:         56
        .size:           8
        .value_kind:     global_buffer
      - .address_space:  global
        .offset:         64
        .size:           8
        .value_kind:     global_buffer
      - .offset:         72
        .size:           1
        .value_kind:     by_value
      - .offset:         73
        .size:           1
        .value_kind:     by_value
    .group_segment_fixed_size: 12288
    .kernarg_segment_align: 8
    .kernarg_segment_size: 76
    .language:       OpenCL C
    .language_version:
      - 2
      - 0
    .max_flat_workgroup_size: 256
    .name:           _ZN7rocprim17ROCPRIM_304000_NS6detail20lookback_scan_kernelILNS1_25lookback_scan_determinismE0ELb0ENS1_19wrapped_scan_configINS0_14default_configEN3c107complexIfEEEEPKS8_PS8_St4plusIS8_ES8_S8_NS1_19lookback_scan_stateIS8_Lb0ELb1EEEEEvT2_T3_mT5_T4_T7_jPT6_SN_bb
    .private_segment_fixed_size: 0
    .sgpr_count:     30
    .sgpr_spill_count: 0
    .symbol:         _ZN7rocprim17ROCPRIM_304000_NS6detail20lookback_scan_kernelILNS1_25lookback_scan_determinismE0ELb0ENS1_19wrapped_scan_configINS0_14default_configEN3c107complexIfEEEEPKS8_PS8_St4plusIS8_ES8_S8_NS1_19lookback_scan_stateIS8_Lb0ELb1EEEEEvT2_T3_mT5_T4_T7_jPT6_SN_bb.kd
    .uniform_work_group_size: 1
    .uses_dynamic_stack: false
    .vgpr_count:     52
    .vgpr_spill_count: 0
    .wavefront_size: 64
  - .agpr_count:     0
    .args:
      - .address_space:  global
        .offset:         0
        .size:           8
        .value_kind:     global_buffer
      - .offset:         8
        .size:           8
        .value_kind:     by_value
      - .address_space:  global
        .offset:         16
        .size:           8
        .value_kind:     global_buffer
      - .offset:         24
        .size:           1
        .value_kind:     by_value
      - .offset:         32
        .size:           4
        .value_kind:     hidden_block_count_x
      - .offset:         36
        .size:           4
        .value_kind:     hidden_block_count_y
      - .offset:         40
        .size:           4
        .value_kind:     hidden_block_count_z
      - .offset:         44
        .size:           2
        .value_kind:     hidden_group_size_x
      - .offset:         46
        .size:           2
        .value_kind:     hidden_group_size_y
      - .offset:         48
        .size:           2
        .value_kind:     hidden_group_size_z
      - .offset:         50
        .size:           2
        .value_kind:     hidden_remainder_x
      - .offset:         52
        .size:           2
        .value_kind:     hidden_remainder_y
      - .offset:         54
        .size:           2
        .value_kind:     hidden_remainder_z
      - .offset:         72
        .size:           8
        .value_kind:     hidden_global_offset_x
      - .offset:         80
        .size:           8
        .value_kind:     hidden_global_offset_y
      - .offset:         88
        .size:           8
        .value_kind:     hidden_global_offset_z
      - .offset:         96
        .size:           2
        .value_kind:     hidden_grid_dims
    .group_segment_fixed_size: 0
    .kernarg_segment_align: 8
    .kernarg_segment_size: 288
    .language:       OpenCL C
    .language_version:
      - 2
      - 0
    .max_flat_workgroup_size: 128
    .name:           _ZN7rocprim17ROCPRIM_304000_NS6detail16transform_kernelINS1_24wrapped_transform_configINS0_14default_configEN3c107complexIfEEEES7_PS7_S9_NS0_8identityIS7_EEEEvT1_mT2_T3_
    .private_segment_fixed_size: 0
    .sgpr_count:     16
    .sgpr_spill_count: 0
    .symbol:         _ZN7rocprim17ROCPRIM_304000_NS6detail16transform_kernelINS1_24wrapped_transform_configINS0_14default_configEN3c107complexIfEEEES7_PS7_S9_NS0_8identityIS7_EEEEvT1_mT2_T3_.kd
    .uniform_work_group_size: 1
    .uses_dynamic_stack: false
    .vgpr_count:     3
    .vgpr_spill_count: 0
    .wavefront_size: 64
  - .agpr_count:     0
    .args:
      - .address_space:  global
        .offset:         0
        .size:           8
        .value_kind:     global_buffer
      - .offset:         8
        .size:           8
        .value_kind:     by_value
      - .offset:         16
        .size:           8
        .value_kind:     by_value
      - .address_space:  global
        .offset:         24
        .size:           8
        .value_kind:     global_buffer
      - .offset:         32
        .size:           1
        .value_kind:     by_value
    .group_segment_fixed_size: 12288
    .kernarg_segment_align: 8
    .kernarg_segment_size: 36
    .language:       OpenCL C
    .language_version:
      - 2
      - 0
    .max_flat_workgroup_size: 256
    .name:           _ZN7rocprim17ROCPRIM_304000_NS6detail18single_scan_kernelILb0ENS1_19wrapped_scan_configINS0_14default_configEN3c107complexIfEEEEPKS7_PS7_St4plusIS7_ES7_S7_EEvT1_mT4_T2_T3_
    .private_segment_fixed_size: 0
    .sgpr_count:     24
    .sgpr_spill_count: 0
    .symbol:         _ZN7rocprim17ROCPRIM_304000_NS6detail18single_scan_kernelILb0ENS1_19wrapped_scan_configINS0_14default_configEN3c107complexIfEEEEPKS7_PS7_St4plusIS7_ES7_S7_EEvT1_mT4_T2_T3_.kd
    .uniform_work_group_size: 1
    .uses_dynamic_stack: false
    .vgpr_count:     33
    .vgpr_spill_count: 0
    .wavefront_size: 64
  - .agpr_count:     0
    .args:
      - .address_space:  global
        .offset:         0
        .size:           8
        .value_kind:     global_buffer
      - .address_space:  global
        .offset:         8
        .size:           8
        .value_kind:     global_buffer
      - .offset:         16
        .size:           4
        .value_kind:     by_value
      - .offset:         20
        .size:           4
        .value_kind:     by_value
      - .offset:         24
        .size:           4
        .value_kind:     by_value
      - .offset:         32
        .size:           8
        .value_kind:     by_value
      - .offset:         40
        .size:           1
        .value_kind:     by_value
      - .offset:         48
        .size:           4
        .value_kind:     hidden_block_count_x
      - .offset:         52
        .size:           4
        .value_kind:     hidden_block_count_y
      - .offset:         56
        .size:           4
        .value_kind:     hidden_block_count_z
      - .offset:         60
        .size:           2
        .value_kind:     hidden_group_size_x
      - .offset:         62
        .size:           2
        .value_kind:     hidden_group_size_y
      - .offset:         64
        .size:           2
        .value_kind:     hidden_group_size_z
      - .offset:         66
        .size:           2
        .value_kind:     hidden_remainder_x
      - .offset:         68
        .size:           2
        .value_kind:     hidden_remainder_y
      - .offset:         70
        .size:           2
        .value_kind:     hidden_remainder_z
      - .offset:         88
        .size:           8
        .value_kind:     hidden_global_offset_x
      - .offset:         96
        .size:           8
        .value_kind:     hidden_global_offset_y
      - .offset:         104
        .size:           8
        .value_kind:     hidden_global_offset_z
      - .offset:         112
        .size:           2
        .value_kind:     hidden_grid_dims
      - .offset:         168
        .size:           4
        .value_kind:     hidden_dynamic_lds_size
    .group_segment_fixed_size: 0
    .kernarg_segment_align: 8
    .kernarg_segment_size: 304
    .language:       OpenCL C
    .language_version:
      - 2
      - 0
    .max_flat_workgroup_size: 1024
    .name:           _ZN2at6native32tensor_kernel_scan_innermost_dimIN3c107complexIfEESt4plusIS4_EEEvPT_PKS7_jjjS7_T0_
    .private_segment_fixed_size: 0
    .sgpr_count:     41
    .sgpr_spill_count: 0
    .symbol:         _ZN2at6native32tensor_kernel_scan_innermost_dimIN3c107complexIfEESt4plusIS4_EEEvPT_PKS7_jjjS7_T0_.kd
    .uniform_work_group_size: 1
    .uses_dynamic_stack: false
    .vgpr_count:     24
    .vgpr_spill_count: 0
    .wavefront_size: 64
  - .agpr_count:     0
    .args:
      - .address_space:  global
        .offset:         0
        .size:           8
        .value_kind:     global_buffer
      - .address_space:  global
        .offset:         8
        .size:           8
        .value_kind:     global_buffer
      - .offset:         16
        .size:           4
        .value_kind:     by_value
      - .offset:         20
        .size:           4
        .value_kind:     by_value
      - .offset:         24
        .size:           4
        .value_kind:     by_value
      - .offset:         32
        .size:           8
        .value_kind:     by_value
      - .offset:         40
        .size:           1
        .value_kind:     by_value
      - .offset:         48
        .size:           4
        .value_kind:     hidden_block_count_x
      - .offset:         52
        .size:           4
        .value_kind:     hidden_block_count_y
      - .offset:         56
        .size:           4
        .value_kind:     hidden_block_count_z
      - .offset:         60
        .size:           2
        .value_kind:     hidden_group_size_x
      - .offset:         62
        .size:           2
        .value_kind:     hidden_group_size_y
      - .offset:         64
        .size:           2
        .value_kind:     hidden_group_size_z
      - .offset:         66
        .size:           2
        .value_kind:     hidden_remainder_x
      - .offset:         68
        .size:           2
        .value_kind:     hidden_remainder_y
      - .offset:         70
        .size:           2
        .value_kind:     hidden_remainder_z
      - .offset:         88
        .size:           8
        .value_kind:     hidden_global_offset_x
      - .offset:         96
        .size:           8
        .value_kind:     hidden_global_offset_y
      - .offset:         104
        .size:           8
        .value_kind:     hidden_global_offset_z
      - .offset:         112
        .size:           2
        .value_kind:     hidden_grid_dims
    .group_segment_fixed_size: 0
    .kernarg_segment_align: 8
    .kernarg_segment_size: 304
    .language:       OpenCL C
    .language_version:
      - 2
      - 0
    .max_flat_workgroup_size: 1024
    .name:           _ZN2at6native28tensor_kernel_scan_outer_dimIN3c107complexIfEEjSt4plusIS4_EEEvPT_PKS7_jjjS7_T1_
    .private_segment_fixed_size: 0
    .sgpr_count:     37
    .sgpr_spill_count: 0
    .symbol:         _ZN2at6native28tensor_kernel_scan_outer_dimIN3c107complexIfEEjSt4plusIS4_EEEvPT_PKS7_jjjS7_T1_.kd
    .uniform_work_group_size: 1
    .uses_dynamic_stack: false
    .vgpr_count:     12
    .vgpr_spill_count: 0
    .wavefront_size: 64
  - .agpr_count:     0
    .args:
      - .address_space:  global
        .offset:         0
        .size:           8
        .value_kind:     global_buffer
      - .address_space:  global
        .offset:         8
        .size:           8
        .value_kind:     global_buffer
      - .offset:         16
        .size:           4
        .value_kind:     by_value
      - .offset:         20
        .size:           4
        .value_kind:     by_value
      - .offset:         24
        .size:           4
        .value_kind:     by_value
      - .offset:         32
        .size:           8
        .value_kind:     by_value
      - .offset:         40
        .size:           1
        .value_kind:     by_value
      - .offset:         48
        .size:           4
        .value_kind:     hidden_block_count_x
      - .offset:         52
        .size:           4
        .value_kind:     hidden_block_count_y
      - .offset:         56
        .size:           4
        .value_kind:     hidden_block_count_z
      - .offset:         60
        .size:           2
        .value_kind:     hidden_group_size_x
      - .offset:         62
        .size:           2
        .value_kind:     hidden_group_size_y
      - .offset:         64
        .size:           2
        .value_kind:     hidden_group_size_z
      - .offset:         66
        .size:           2
        .value_kind:     hidden_remainder_x
      - .offset:         68
        .size:           2
        .value_kind:     hidden_remainder_y
      - .offset:         70
        .size:           2
        .value_kind:     hidden_remainder_z
      - .offset:         88
        .size:           8
        .value_kind:     hidden_global_offset_x
      - .offset:         96
        .size:           8
        .value_kind:     hidden_global_offset_y
      - .offset:         104
        .size:           8
        .value_kind:     hidden_global_offset_z
      - .offset:         112
        .size:           2
        .value_kind:     hidden_grid_dims
    .group_segment_fixed_size: 0
    .kernarg_segment_align: 8
    .kernarg_segment_size: 304
    .language:       OpenCL C
    .language_version:
      - 2
      - 0
    .max_flat_workgroup_size: 1024
    .name:           _ZN2at6native28tensor_kernel_scan_outer_dimIN3c107complexIfEEmSt4plusIS4_EEEvPT_PKS7_jjjS7_T1_
    .private_segment_fixed_size: 0
    .sgpr_count:     36
    .sgpr_spill_count: 0
    .symbol:         _ZN2at6native28tensor_kernel_scan_outer_dimIN3c107complexIfEEmSt4plusIS4_EEEvPT_PKS7_jjjS7_T1_.kd
    .uniform_work_group_size: 1
    .uses_dynamic_stack: false
    .vgpr_count:     12
    .vgpr_spill_count: 0
    .wavefront_size: 64
  - .agpr_count:     0
    .args:
      - .address_space:  global
        .offset:         0
        .size:           8
        .value_kind:     global_buffer
      - .address_space:  global
        .offset:         8
        .size:           8
        .value_kind:     global_buffer
      - .offset:         16
        .size:           8
        .value_kind:     by_value
      - .offset:         24
        .size:           4
        .value_kind:     by_value
    .group_segment_fixed_size: 16
    .kernarg_segment_align: 8
    .kernarg_segment_size: 28
    .language:       OpenCL C
    .language_version:
      - 2
      - 0
    .max_flat_workgroup_size: 1024
    .name:           _ZN2at4cuda3cub15calc_block_sumsILi512ELi16ELb0EN3c104HalfES4_EEvPKT2_PT3_li
    .private_segment_fixed_size: 0
    .sgpr_count:     21
    .sgpr_spill_count: 0
    .symbol:         _ZN2at4cuda3cub15calc_block_sumsILi512ELi16ELb0EN3c104HalfES4_EEvPKT2_PT3_li.kd
    .uniform_work_group_size: 1
    .uses_dynamic_stack: false
    .vgpr_count:     44
    .vgpr_spill_count: 0
    .wavefront_size: 64
  - .agpr_count:     0
    .args:
      - .address_space:  global
        .offset:         0
        .size:           8
        .value_kind:     global_buffer
      - .address_space:  global
        .offset:         8
        .size:           8
        .value_kind:     global_buffer
      - .address_space:  global
        .offset:         16
        .size:           8
        .value_kind:     global_buffer
      - .offset:         24
        .size:           8
        .value_kind:     by_value
      - .offset:         32
        .size:           4
        .value_kind:     by_value
      - .offset:         40
        .size:           4
        .value_kind:     hidden_block_count_x
      - .offset:         44
        .size:           4
        .value_kind:     hidden_block_count_y
      - .offset:         48
        .size:           4
        .value_kind:     hidden_block_count_z
      - .offset:         52
        .size:           2
        .value_kind:     hidden_group_size_x
      - .offset:         54
        .size:           2
        .value_kind:     hidden_group_size_y
      - .offset:         56
        .size:           2
        .value_kind:     hidden_group_size_z
      - .offset:         58
        .size:           2
        .value_kind:     hidden_remainder_x
      - .offset:         60
        .size:           2
        .value_kind:     hidden_remainder_y
      - .offset:         62
        .size:           2
        .value_kind:     hidden_remainder_z
      - .offset:         80
        .size:           8
        .value_kind:     hidden_global_offset_x
      - .offset:         88
        .size:           8
        .value_kind:     hidden_global_offset_y
      - .offset:         96
        .size:           8
        .value_kind:     hidden_global_offset_z
      - .offset:         104
        .size:           2
        .value_kind:     hidden_grid_dims
    .group_segment_fixed_size: 16896
    .kernarg_segment_align: 8
    .kernarg_segment_size: 296
    .language:       OpenCL C
    .language_version:
      - 2
      - 0
    .max_flat_workgroup_size: 1024
    .name:           _ZN2at4cuda3cub17final_scan_kernelILi512ELi16EN3c104HalfEEEvPKT1_PS5_S8_li
    .private_segment_fixed_size: 0
    .sgpr_count:     52
    .sgpr_spill_count: 0
    .symbol:         _ZN2at4cuda3cub17final_scan_kernelILi512ELi16EN3c104HalfEEEvPKT1_PS5_S8_li.kd
    .uniform_work_group_size: 1
    .uses_dynamic_stack: false
    .vgpr_count:     71
    .vgpr_spill_count: 0
    .wavefront_size: 64
  - .agpr_count:     0
    .args:
      - .address_space:  global
        .offset:         0
        .size:           8
        .value_kind:     global_buffer
      - .offset:         8
        .size:           4
        .value_kind:     by_value
      - .offset:         12
        .size:           4
        .value_kind:     by_value
      - .address_space:  global
        .offset:         16
        .size:           8
        .value_kind:     global_buffer
      - .offset:         24
        .size:           4
        .value_kind:     hidden_block_count_x
      - .offset:         28
        .size:           4
        .value_kind:     hidden_block_count_y
      - .offset:         32
        .size:           4
        .value_kind:     hidden_block_count_z
      - .offset:         36
        .size:           2
        .value_kind:     hidden_group_size_x
      - .offset:         38
        .size:           2
        .value_kind:     hidden_group_size_y
      - .offset:         40
        .size:           2
        .value_kind:     hidden_group_size_z
      - .offset:         42
        .size:           2
        .value_kind:     hidden_remainder_x
      - .offset:         44
        .size:           2
        .value_kind:     hidden_remainder_y
      - .offset:         46
        .size:           2
        .value_kind:     hidden_remainder_z
      - .offset:         64
        .size:           8
        .value_kind:     hidden_global_offset_x
      - .offset:         72
        .size:           8
        .value_kind:     hidden_global_offset_y
      - .offset:         80
        .size:           8
        .value_kind:     hidden_global_offset_z
      - .offset:         88
        .size:           2
        .value_kind:     hidden_grid_dims
    .group_segment_fixed_size: 0
    .kernarg_segment_align: 8
    .kernarg_segment_size: 280
    .language:       OpenCL C
    .language_version:
      - 2
      - 0
    .max_flat_workgroup_size: 256
    .name:           _ZN7rocprim17ROCPRIM_304000_NS6detail31init_lookback_scan_state_kernelINS1_19lookback_scan_stateIN3c104HalfELb1ELb1EEEEEvT_jjPNS7_10value_typeE
    .private_segment_fixed_size: 0
    .sgpr_count:     18
    .sgpr_spill_count: 0
    .symbol:         _ZN7rocprim17ROCPRIM_304000_NS6detail31init_lookback_scan_state_kernelINS1_19lookback_scan_stateIN3c104HalfELb1ELb1EEEEEvT_jjPNS7_10value_typeE.kd
    .uniform_work_group_size: 1
    .uses_dynamic_stack: false
    .vgpr_count:     6
    .vgpr_spill_count: 0
    .wavefront_size: 64
  - .agpr_count:     0
    .args:
      - .address_space:  global
        .offset:         0
        .size:           8
        .value_kind:     global_buffer
      - .offset:         8
        .size:           4
        .value_kind:     by_value
      - .offset:         12
        .size:           4
        .value_kind:     by_value
      - .address_space:  global
        .offset:         16
        .size:           8
        .value_kind:     global_buffer
      - .offset:         24
        .size:           4
        .value_kind:     hidden_block_count_x
      - .offset:         28
        .size:           4
        .value_kind:     hidden_block_count_y
      - .offset:         32
        .size:           4
        .value_kind:     hidden_block_count_z
      - .offset:         36
        .size:           2
        .value_kind:     hidden_group_size_x
      - .offset:         38
        .size:           2
        .value_kind:     hidden_group_size_y
      - .offset:         40
        .size:           2
        .value_kind:     hidden_group_size_z
      - .offset:         42
        .size:           2
        .value_kind:     hidden_remainder_x
      - .offset:         44
        .size:           2
        .value_kind:     hidden_remainder_y
      - .offset:         46
        .size:           2
        .value_kind:     hidden_remainder_z
      - .offset:         64
        .size:           8
        .value_kind:     hidden_global_offset_x
      - .offset:         72
        .size:           8
        .value_kind:     hidden_global_offset_y
      - .offset:         80
        .size:           8
        .value_kind:     hidden_global_offset_z
      - .offset:         88
        .size:           2
        .value_kind:     hidden_grid_dims
    .group_segment_fixed_size: 0
    .kernarg_segment_align: 8
    .kernarg_segment_size: 280
    .language:       OpenCL C
    .language_version:
      - 2
      - 0
    .max_flat_workgroup_size: 256
    .name:           _ZN7rocprim17ROCPRIM_304000_NS6detail31init_lookback_scan_state_kernelINS1_19lookback_scan_stateIN3c104HalfELb0ELb1EEEEEvT_jjPNS7_10value_typeE
    .private_segment_fixed_size: 0
    .sgpr_count:     16
    .sgpr_spill_count: 0
    .symbol:         _ZN7rocprim17ROCPRIM_304000_NS6detail31init_lookback_scan_state_kernelINS1_19lookback_scan_stateIN3c104HalfELb0ELb1EEEEEvT_jjPNS7_10value_typeE.kd
    .uniform_work_group_size: 1
    .uses_dynamic_stack: false
    .vgpr_count:     6
    .vgpr_spill_count: 0
    .wavefront_size: 64
  - .agpr_count:     0
    .args:
      - .address_space:  global
        .offset:         0
        .size:           8
        .value_kind:     global_buffer
      - .address_space:  global
        .offset:         8
        .size:           8
        .value_kind:     global_buffer
      - .offset:         16
        .size:           8
        .value_kind:     by_value
      - .offset:         24
        .size:           2
        .value_kind:     by_value
      - .offset:         26
        .size:           1
        .value_kind:     by_value
      - .address_space:  global
        .offset:         32
        .size:           8
        .value_kind:     global_buffer
      - .offset:         40
        .size:           4
        .value_kind:     by_value
      - .address_space:  global
        .offset:         48
        .size:           8
        .value_kind:     global_buffer
      - .address_space:  global
        .offset:         56
        .size:           8
        .value_kind:     global_buffer
      - .offset:         64
        .size:           1
        .value_kind:     by_value
      - .offset:         65
        .size:           1
        .value_kind:     by_value
    .group_segment_fixed_size: 0
    .kernarg_segment_align: 8
    .kernarg_segment_size: 68
    .language:       OpenCL C
    .language_version:
      - 2
      - 0
    .max_flat_workgroup_size: 128
    .name:           _ZN7rocprim17ROCPRIM_304000_NS6detail20lookback_scan_kernelILNS1_25lookback_scan_determinismE0ELb0ENS1_19wrapped_scan_configINS0_14default_configEN3c104HalfEEEPKS7_PS7_St4plusIS7_ES7_S7_NS1_19lookback_scan_stateIS7_Lb1ELb1EEEEEvT2_T3_mT5_T4_T7_jPT6_SM_bb
    .private_segment_fixed_size: 0
    .sgpr_count:     6
    .sgpr_spill_count: 0
    .symbol:         _ZN7rocprim17ROCPRIM_304000_NS6detail20lookback_scan_kernelILNS1_25lookback_scan_determinismE0ELb0ENS1_19wrapped_scan_configINS0_14default_configEN3c104HalfEEEPKS7_PS7_St4plusIS7_ES7_S7_NS1_19lookback_scan_stateIS7_Lb1ELb1EEEEEvT2_T3_mT5_T4_T7_jPT6_SM_bb.kd
    .uniform_work_group_size: 1
    .uses_dynamic_stack: false
    .vgpr_count:     0
    .vgpr_spill_count: 0
    .wavefront_size: 64
  - .agpr_count:     0
    .args:
      - .address_space:  global
        .offset:         0
        .size:           8
        .value_kind:     global_buffer
      - .address_space:  global
        .offset:         8
        .size:           8
        .value_kind:     global_buffer
      - .offset:         16
        .size:           8
        .value_kind:     by_value
      - .offset:         24
        .size:           2
        .value_kind:     by_value
      - .offset:         26
        .size:           1
        .value_kind:     by_value
      - .address_space:  global
        .offset:         32
        .size:           8
        .value_kind:     global_buffer
      - .offset:         40
        .size:           4
        .value_kind:     by_value
      - .address_space:  global
        .offset:         48
        .size:           8
        .value_kind:     global_buffer
      - .address_space:  global
        .offset:         56
        .size:           8
        .value_kind:     global_buffer
      - .offset:         64
        .size:           1
        .value_kind:     by_value
      - .offset:         65
        .size:           1
        .value_kind:     by_value
    .group_segment_fixed_size: 3584
    .kernarg_segment_align: 8
    .kernarg_segment_size: 68
    .language:       OpenCL C
    .language_version:
      - 2
      - 0
    .max_flat_workgroup_size: 128
    .name:           _ZN7rocprim17ROCPRIM_304000_NS6detail20lookback_scan_kernelILNS1_25lookback_scan_determinismE0ELb0ENS1_19wrapped_scan_configINS0_14default_configEN3c104HalfEEEPKS7_PS7_St4plusIS7_ES7_S7_NS1_19lookback_scan_stateIS7_Lb0ELb1EEEEEvT2_T3_mT5_T4_T7_jPT6_SM_bb
    .private_segment_fixed_size: 0
    .sgpr_count:     36
    .sgpr_spill_count: 0
    .symbol:         _ZN7rocprim17ROCPRIM_304000_NS6detail20lookback_scan_kernelILNS1_25lookback_scan_determinismE0ELb0ENS1_19wrapped_scan_configINS0_14default_configEN3c104HalfEEEPKS7_PS7_St4plusIS7_ES7_S7_NS1_19lookback_scan_stateIS7_Lb0ELb1EEEEEvT2_T3_mT5_T4_T7_jPT6_SM_bb.kd
    .uniform_work_group_size: 1
    .uses_dynamic_stack: false
    .vgpr_count:     45
    .vgpr_spill_count: 0
    .wavefront_size: 64
  - .agpr_count:     0
    .args:
      - .address_space:  global
        .offset:         0
        .size:           8
        .value_kind:     global_buffer
      - .offset:         8
        .size:           8
        .value_kind:     by_value
      - .address_space:  global
        .offset:         16
        .size:           8
        .value_kind:     global_buffer
      - .offset:         24
        .size:           1
        .value_kind:     by_value
      - .offset:         32
        .size:           4
        .value_kind:     hidden_block_count_x
      - .offset:         36
        .size:           4
        .value_kind:     hidden_block_count_y
      - .offset:         40
        .size:           4
        .value_kind:     hidden_block_count_z
      - .offset:         44
        .size:           2
        .value_kind:     hidden_group_size_x
      - .offset:         46
        .size:           2
        .value_kind:     hidden_group_size_y
      - .offset:         48
        .size:           2
        .value_kind:     hidden_group_size_z
      - .offset:         50
        .size:           2
        .value_kind:     hidden_remainder_x
      - .offset:         52
        .size:           2
        .value_kind:     hidden_remainder_y
      - .offset:         54
        .size:           2
        .value_kind:     hidden_remainder_z
      - .offset:         72
        .size:           8
        .value_kind:     hidden_global_offset_x
      - .offset:         80
        .size:           8
        .value_kind:     hidden_global_offset_y
      - .offset:         88
        .size:           8
        .value_kind:     hidden_global_offset_z
      - .offset:         96
        .size:           2
        .value_kind:     hidden_grid_dims
    .group_segment_fixed_size: 0
    .kernarg_segment_align: 8
    .kernarg_segment_size: 288
    .language:       OpenCL C
    .language_version:
      - 2
      - 0
    .max_flat_workgroup_size: 128
    .name:           _ZN7rocprim17ROCPRIM_304000_NS6detail16transform_kernelINS1_24wrapped_transform_configINS0_14default_configEN3c104HalfEEES6_PS6_S8_NS0_8identityIS6_EEEEvT1_mT2_T3_
    .private_segment_fixed_size: 0
    .sgpr_count:     18
    .sgpr_spill_count: 0
    .symbol:         _ZN7rocprim17ROCPRIM_304000_NS6detail16transform_kernelINS1_24wrapped_transform_configINS0_14default_configEN3c104HalfEEES6_PS6_S8_NS0_8identityIS6_EEEEvT1_mT2_T3_.kd
    .uniform_work_group_size: 1
    .uses_dynamic_stack: false
    .vgpr_count:     10
    .vgpr_spill_count: 0
    .wavefront_size: 64
  - .agpr_count:     0
    .args:
      - .address_space:  global
        .offset:         0
        .size:           8
        .value_kind:     global_buffer
      - .offset:         8
        .size:           8
        .value_kind:     by_value
      - .offset:         16
        .size:           2
        .value_kind:     by_value
      - .address_space:  global
        .offset:         24
        .size:           8
        .value_kind:     global_buffer
      - .offset:         32
        .size:           1
        .value_kind:     by_value
    .group_segment_fixed_size: 3584
    .kernarg_segment_align: 8
    .kernarg_segment_size: 36
    .language:       OpenCL C
    .language_version:
      - 2
      - 0
    .max_flat_workgroup_size: 128
    .name:           _ZN7rocprim17ROCPRIM_304000_NS6detail18single_scan_kernelILb0ENS1_19wrapped_scan_configINS0_14default_configEN3c104HalfEEEPKS6_PS6_St4plusIS6_ES6_S6_EEvT1_mT4_T2_T3_
    .private_segment_fixed_size: 0
    .sgpr_count:     38
    .sgpr_spill_count: 0
    .symbol:         _ZN7rocprim17ROCPRIM_304000_NS6detail18single_scan_kernelILb0ENS1_19wrapped_scan_configINS0_14default_configEN3c104HalfEEEPKS6_PS6_St4plusIS6_ES6_S6_EEvT1_mT4_T2_T3_.kd
    .uniform_work_group_size: 1
    .uses_dynamic_stack: false
    .vgpr_count:     19
    .vgpr_spill_count: 0
    .wavefront_size: 64
  - .agpr_count:     0
    .args:
      - .address_space:  global
        .offset:         0
        .size:           8
        .value_kind:     global_buffer
      - .address_space:  global
        .offset:         8
        .size:           8
        .value_kind:     global_buffer
      - .offset:         16
        .size:           4
        .value_kind:     by_value
      - .offset:         20
        .size:           4
        .value_kind:     by_value
      - .offset:         24
        .size:           4
        .value_kind:     by_value
      - .offset:         28
        .size:           2
        .value_kind:     by_value
      - .offset:         30
        .size:           1
        .value_kind:     by_value
      - .offset:         32
        .size:           4
        .value_kind:     hidden_block_count_x
      - .offset:         36
        .size:           4
        .value_kind:     hidden_block_count_y
      - .offset:         40
        .size:           4
        .value_kind:     hidden_block_count_z
      - .offset:         44
        .size:           2
        .value_kind:     hidden_group_size_x
      - .offset:         46
        .size:           2
        .value_kind:     hidden_group_size_y
      - .offset:         48
        .size:           2
        .value_kind:     hidden_group_size_z
      - .offset:         50
        .size:           2
        .value_kind:     hidden_remainder_x
      - .offset:         52
        .size:           2
        .value_kind:     hidden_remainder_y
      - .offset:         54
        .size:           2
        .value_kind:     hidden_remainder_z
      - .offset:         72
        .size:           8
        .value_kind:     hidden_global_offset_x
      - .offset:         80
        .size:           8
        .value_kind:     hidden_global_offset_y
      - .offset:         88
        .size:           8
        .value_kind:     hidden_global_offset_z
      - .offset:         96
        .size:           2
        .value_kind:     hidden_grid_dims
      - .offset:         152
        .size:           4
        .value_kind:     hidden_dynamic_lds_size
    .group_segment_fixed_size: 0
    .kernarg_segment_align: 8
    .kernarg_segment_size: 288
    .language:       OpenCL C
    .language_version:
      - 2
      - 0
    .max_flat_workgroup_size: 1024
    .name:           _ZN2at6native32tensor_kernel_scan_innermost_dimIN3c104HalfESt4plusIS3_EEEvPT_PKS6_jjjS6_T0_
    .private_segment_fixed_size: 0
    .sgpr_count:     40
    .sgpr_spill_count: 0
    .symbol:         _ZN2at6native32tensor_kernel_scan_innermost_dimIN3c104HalfESt4plusIS3_EEEvPT_PKS6_jjjS6_T0_.kd
    .uniform_work_group_size: 1
    .uses_dynamic_stack: false
    .vgpr_count:     24
    .vgpr_spill_count: 0
    .wavefront_size: 64
  - .agpr_count:     0
    .args:
      - .address_space:  global
        .offset:         0
        .size:           8
        .value_kind:     global_buffer
      - .address_space:  global
        .offset:         8
        .size:           8
        .value_kind:     global_buffer
      - .offset:         16
        .size:           4
        .value_kind:     by_value
      - .offset:         20
        .size:           4
        .value_kind:     by_value
      - .offset:         24
        .size:           4
        .value_kind:     by_value
      - .offset:         28
        .size:           2
        .value_kind:     by_value
      - .offset:         30
        .size:           1
        .value_kind:     by_value
      - .offset:         32
        .size:           4
        .value_kind:     hidden_block_count_x
      - .offset:         36
        .size:           4
        .value_kind:     hidden_block_count_y
      - .offset:         40
        .size:           4
        .value_kind:     hidden_block_count_z
      - .offset:         44
        .size:           2
        .value_kind:     hidden_group_size_x
      - .offset:         46
        .size:           2
        .value_kind:     hidden_group_size_y
      - .offset:         48
        .size:           2
        .value_kind:     hidden_group_size_z
      - .offset:         50
        .size:           2
        .value_kind:     hidden_remainder_x
      - .offset:         52
        .size:           2
        .value_kind:     hidden_remainder_y
      - .offset:         54
        .size:           2
        .value_kind:     hidden_remainder_z
      - .offset:         72
        .size:           8
        .value_kind:     hidden_global_offset_x
      - .offset:         80
        .size:           8
        .value_kind:     hidden_global_offset_y
      - .offset:         88
        .size:           8
        .value_kind:     hidden_global_offset_z
      - .offset:         96
        .size:           2
        .value_kind:     hidden_grid_dims
    .group_segment_fixed_size: 0
    .kernarg_segment_align: 8
    .kernarg_segment_size: 288
    .language:       OpenCL C
    .language_version:
      - 2
      - 0
    .max_flat_workgroup_size: 1024
    .name:           _ZN2at6native28tensor_kernel_scan_outer_dimIN3c104HalfEjSt4plusIS3_EEEvPT_PKS6_jjjS6_T1_
    .private_segment_fixed_size: 0
    .sgpr_count:     36
    .sgpr_spill_count: 0
    .symbol:         _ZN2at6native28tensor_kernel_scan_outer_dimIN3c104HalfEjSt4plusIS3_EEEvPT_PKS6_jjjS6_T1_.kd
    .uniform_work_group_size: 1
    .uses_dynamic_stack: false
    .vgpr_count:     9
    .vgpr_spill_count: 0
    .wavefront_size: 64
  - .agpr_count:     0
    .args:
      - .address_space:  global
        .offset:         0
        .size:           8
        .value_kind:     global_buffer
      - .address_space:  global
        .offset:         8
        .size:           8
        .value_kind:     global_buffer
      - .offset:         16
        .size:           4
        .value_kind:     by_value
      - .offset:         20
        .size:           4
        .value_kind:     by_value
      - .offset:         24
        .size:           4
        .value_kind:     by_value
      - .offset:         28
        .size:           2
        .value_kind:     by_value
      - .offset:         30
        .size:           1
        .value_kind:     by_value
      - .offset:         32
        .size:           4
        .value_kind:     hidden_block_count_x
      - .offset:         36
        .size:           4
        .value_kind:     hidden_block_count_y
      - .offset:         40
        .size:           4
        .value_kind:     hidden_block_count_z
      - .offset:         44
        .size:           2
        .value_kind:     hidden_group_size_x
      - .offset:         46
        .size:           2
        .value_kind:     hidden_group_size_y
      - .offset:         48
        .size:           2
        .value_kind:     hidden_group_size_z
      - .offset:         50
        .size:           2
        .value_kind:     hidden_remainder_x
      - .offset:         52
        .size:           2
        .value_kind:     hidden_remainder_y
      - .offset:         54
        .size:           2
        .value_kind:     hidden_remainder_z
      - .offset:         72
        .size:           8
        .value_kind:     hidden_global_offset_x
      - .offset:         80
        .size:           8
        .value_kind:     hidden_global_offset_y
      - .offset:         88
        .size:           8
        .value_kind:     hidden_global_offset_z
      - .offset:         96
        .size:           2
        .value_kind:     hidden_grid_dims
    .group_segment_fixed_size: 0
    .kernarg_segment_align: 8
    .kernarg_segment_size: 288
    .language:       OpenCL C
    .language_version:
      - 2
      - 0
    .max_flat_workgroup_size: 1024
    .name:           _ZN2at6native28tensor_kernel_scan_outer_dimIN3c104HalfEmSt4plusIS3_EEEvPT_PKS6_jjjS6_T1_
    .private_segment_fixed_size: 0
    .sgpr_count:     35
    .sgpr_spill_count: 0
    .symbol:         _ZN2at6native28tensor_kernel_scan_outer_dimIN3c104HalfEmSt4plusIS3_EEEvPT_PKS6_jjjS6_T1_.kd
    .uniform_work_group_size: 1
    .uses_dynamic_stack: false
    .vgpr_count:     9
    .vgpr_spill_count: 0
    .wavefront_size: 64
  - .agpr_count:     0
    .args:
      - .address_space:  global
        .offset:         0
        .size:           8
        .value_kind:     global_buffer
      - .address_space:  global
        .offset:         8
        .size:           8
        .value_kind:     global_buffer
      - .offset:         16
        .size:           8
        .value_kind:     by_value
      - .offset:         24
        .size:           4
        .value_kind:     by_value
    .group_segment_fixed_size: 16
    .kernarg_segment_align: 8
    .kernarg_segment_size: 28
    .language:       OpenCL C
    .language_version:
      - 2
      - 0
    .max_flat_workgroup_size: 1024
    .name:           _ZN2at4cuda3cub15calc_block_sumsILi512ELi16ELb0EN3c108BFloat16ES4_EEvPKT2_PT3_li
    .private_segment_fixed_size: 0
    .sgpr_count:     23
    .sgpr_spill_count: 0
    .symbol:         _ZN2at4cuda3cub15calc_block_sumsILi512ELi16ELb0EN3c108BFloat16ES4_EEvPKT2_PT3_li.kd
    .uniform_work_group_size: 1
    .uses_dynamic_stack: false
    .vgpr_count:     46
    .vgpr_spill_count: 0
    .wavefront_size: 64
  - .agpr_count:     0
    .args:
      - .address_space:  global
        .offset:         0
        .size:           8
        .value_kind:     global_buffer
      - .address_space:  global
        .offset:         8
        .size:           8
        .value_kind:     global_buffer
      - .address_space:  global
        .offset:         16
        .size:           8
        .value_kind:     global_buffer
      - .offset:         24
        .size:           8
        .value_kind:     by_value
      - .offset:         32
        .size:           4
        .value_kind:     by_value
      - .offset:         40
        .size:           4
        .value_kind:     hidden_block_count_x
      - .offset:         44
        .size:           4
        .value_kind:     hidden_block_count_y
      - .offset:         48
        .size:           4
        .value_kind:     hidden_block_count_z
      - .offset:         52
        .size:           2
        .value_kind:     hidden_group_size_x
      - .offset:         54
        .size:           2
        .value_kind:     hidden_group_size_y
      - .offset:         56
        .size:           2
        .value_kind:     hidden_group_size_z
      - .offset:         58
        .size:           2
        .value_kind:     hidden_remainder_x
      - .offset:         60
        .size:           2
        .value_kind:     hidden_remainder_y
      - .offset:         62
        .size:           2
        .value_kind:     hidden_remainder_z
      - .offset:         80
        .size:           8
        .value_kind:     hidden_global_offset_x
      - .offset:         88
        .size:           8
        .value_kind:     hidden_global_offset_y
      - .offset:         96
        .size:           8
        .value_kind:     hidden_global_offset_z
      - .offset:         104
        .size:           2
        .value_kind:     hidden_grid_dims
    .group_segment_fixed_size: 16896
    .kernarg_segment_align: 8
    .kernarg_segment_size: 296
    .language:       OpenCL C
    .language_version:
      - 2
      - 0
    .max_flat_workgroup_size: 1024
    .name:           _ZN2at4cuda3cub17final_scan_kernelILi512ELi16EN3c108BFloat16EEEvPKT1_PS5_S8_li
    .private_segment_fixed_size: 0
    .sgpr_count:     54
    .sgpr_spill_count: 0
    .symbol:         _ZN2at4cuda3cub17final_scan_kernelILi512ELi16EN3c108BFloat16EEEvPKT1_PS5_S8_li.kd
    .uniform_work_group_size: 1
    .uses_dynamic_stack: false
    .vgpr_count:     71
    .vgpr_spill_count: 0
    .wavefront_size: 64
  - .agpr_count:     0
    .args:
      - .address_space:  global
        .offset:         0
        .size:           8
        .value_kind:     global_buffer
      - .offset:         8
        .size:           4
        .value_kind:     by_value
      - .offset:         12
        .size:           4
        .value_kind:     by_value
      - .address_space:  global
        .offset:         16
        .size:           8
        .value_kind:     global_buffer
      - .offset:         24
        .size:           4
        .value_kind:     hidden_block_count_x
      - .offset:         28
        .size:           4
        .value_kind:     hidden_block_count_y
      - .offset:         32
        .size:           4
        .value_kind:     hidden_block_count_z
      - .offset:         36
        .size:           2
        .value_kind:     hidden_group_size_x
      - .offset:         38
        .size:           2
        .value_kind:     hidden_group_size_y
      - .offset:         40
        .size:           2
        .value_kind:     hidden_group_size_z
      - .offset:         42
        .size:           2
        .value_kind:     hidden_remainder_x
      - .offset:         44
        .size:           2
        .value_kind:     hidden_remainder_y
      - .offset:         46
        .size:           2
        .value_kind:     hidden_remainder_z
      - .offset:         64
        .size:           8
        .value_kind:     hidden_global_offset_x
      - .offset:         72
        .size:           8
        .value_kind:     hidden_global_offset_y
      - .offset:         80
        .size:           8
        .value_kind:     hidden_global_offset_z
      - .offset:         88
        .size:           2
        .value_kind:     hidden_grid_dims
    .group_segment_fixed_size: 0
    .kernarg_segment_align: 8
    .kernarg_segment_size: 280
    .language:       OpenCL C
    .language_version:
      - 2
      - 0
    .max_flat_workgroup_size: 256
    .name:           _ZN7rocprim17ROCPRIM_304000_NS6detail31init_lookback_scan_state_kernelINS1_19lookback_scan_stateIN3c108BFloat16ELb1ELb1EEEEEvT_jjPNS7_10value_typeE
    .private_segment_fixed_size: 0
    .sgpr_count:     18
    .sgpr_spill_count: 0
    .symbol:         _ZN7rocprim17ROCPRIM_304000_NS6detail31init_lookback_scan_state_kernelINS1_19lookback_scan_stateIN3c108BFloat16ELb1ELb1EEEEEvT_jjPNS7_10value_typeE.kd
    .uniform_work_group_size: 1
    .uses_dynamic_stack: false
    .vgpr_count:     6
    .vgpr_spill_count: 0
    .wavefront_size: 64
  - .agpr_count:     0
    .args:
      - .address_space:  global
        .offset:         0
        .size:           8
        .value_kind:     global_buffer
      - .offset:         8
        .size:           4
        .value_kind:     by_value
      - .offset:         12
        .size:           4
        .value_kind:     by_value
      - .address_space:  global
        .offset:         16
        .size:           8
        .value_kind:     global_buffer
      - .offset:         24
        .size:           4
        .value_kind:     hidden_block_count_x
      - .offset:         28
        .size:           4
        .value_kind:     hidden_block_count_y
      - .offset:         32
        .size:           4
        .value_kind:     hidden_block_count_z
      - .offset:         36
        .size:           2
        .value_kind:     hidden_group_size_x
      - .offset:         38
        .size:           2
        .value_kind:     hidden_group_size_y
      - .offset:         40
        .size:           2
        .value_kind:     hidden_group_size_z
      - .offset:         42
        .size:           2
        .value_kind:     hidden_remainder_x
      - .offset:         44
        .size:           2
        .value_kind:     hidden_remainder_y
      - .offset:         46
        .size:           2
        .value_kind:     hidden_remainder_z
      - .offset:         64
        .size:           8
        .value_kind:     hidden_global_offset_x
      - .offset:         72
        .size:           8
        .value_kind:     hidden_global_offset_y
      - .offset:         80
        .size:           8
        .value_kind:     hidden_global_offset_z
      - .offset:         88
        .size:           2
        .value_kind:     hidden_grid_dims
    .group_segment_fixed_size: 0
    .kernarg_segment_align: 8
    .kernarg_segment_size: 280
    .language:       OpenCL C
    .language_version:
      - 2
      - 0
    .max_flat_workgroup_size: 256
    .name:           _ZN7rocprim17ROCPRIM_304000_NS6detail31init_lookback_scan_state_kernelINS1_19lookback_scan_stateIN3c108BFloat16ELb0ELb1EEEEEvT_jjPNS7_10value_typeE
    .private_segment_fixed_size: 0
    .sgpr_count:     16
    .sgpr_spill_count: 0
    .symbol:         _ZN7rocprim17ROCPRIM_304000_NS6detail31init_lookback_scan_state_kernelINS1_19lookback_scan_stateIN3c108BFloat16ELb0ELb1EEEEEvT_jjPNS7_10value_typeE.kd
    .uniform_work_group_size: 1
    .uses_dynamic_stack: false
    .vgpr_count:     6
    .vgpr_spill_count: 0
    .wavefront_size: 64
  - .agpr_count:     0
    .args:
      - .address_space:  global
        .offset:         0
        .size:           8
        .value_kind:     global_buffer
      - .address_space:  global
        .offset:         8
        .size:           8
        .value_kind:     global_buffer
      - .offset:         16
        .size:           8
        .value_kind:     by_value
      - .offset:         24
        .size:           2
        .value_kind:     by_value
      - .offset:         26
        .size:           1
        .value_kind:     by_value
      - .address_space:  global
        .offset:         32
        .size:           8
        .value_kind:     global_buffer
      - .offset:         40
        .size:           4
        .value_kind:     by_value
      - .address_space:  global
        .offset:         48
        .size:           8
        .value_kind:     global_buffer
      - .address_space:  global
        .offset:         56
        .size:           8
        .value_kind:     global_buffer
      - .offset:         64
        .size:           1
        .value_kind:     by_value
      - .offset:         65
        .size:           1
        .value_kind:     by_value
    .group_segment_fixed_size: 0
    .kernarg_segment_align: 8
    .kernarg_segment_size: 68
    .language:       OpenCL C
    .language_version:
      - 2
      - 0
    .max_flat_workgroup_size: 128
    .name:           _ZN7rocprim17ROCPRIM_304000_NS6detail20lookback_scan_kernelILNS1_25lookback_scan_determinismE0ELb0ENS1_19wrapped_scan_configINS0_14default_configEN3c108BFloat16EEEPKS7_PS7_St4plusIS7_ES7_S7_NS1_19lookback_scan_stateIS7_Lb1ELb1EEEEEvT2_T3_mT5_T4_T7_jPT6_SM_bb
    .private_segment_fixed_size: 0
    .sgpr_count:     6
    .sgpr_spill_count: 0
    .symbol:         _ZN7rocprim17ROCPRIM_304000_NS6detail20lookback_scan_kernelILNS1_25lookback_scan_determinismE0ELb0ENS1_19wrapped_scan_configINS0_14default_configEN3c108BFloat16EEEPKS7_PS7_St4plusIS7_ES7_S7_NS1_19lookback_scan_stateIS7_Lb1ELb1EEEEEvT2_T3_mT5_T4_T7_jPT6_SM_bb.kd
    .uniform_work_group_size: 1
    .uses_dynamic_stack: false
    .vgpr_count:     0
    .vgpr_spill_count: 0
    .wavefront_size: 64
  - .agpr_count:     0
    .args:
      - .address_space:  global
        .offset:         0
        .size:           8
        .value_kind:     global_buffer
      - .address_space:  global
        .offset:         8
        .size:           8
        .value_kind:     global_buffer
      - .offset:         16
        .size:           8
        .value_kind:     by_value
      - .offset:         24
        .size:           2
        .value_kind:     by_value
      - .offset:         26
        .size:           1
        .value_kind:     by_value
      - .address_space:  global
        .offset:         32
        .size:           8
        .value_kind:     global_buffer
      - .offset:         40
        .size:           4
        .value_kind:     by_value
      - .address_space:  global
        .offset:         48
        .size:           8
        .value_kind:     global_buffer
      - .address_space:  global
        .offset:         56
        .size:           8
        .value_kind:     global_buffer
      - .offset:         64
        .size:           1
        .value_kind:     by_value
      - .offset:         65
        .size:           1
        .value_kind:     by_value
    .group_segment_fixed_size: 3584
    .kernarg_segment_align: 8
    .kernarg_segment_size: 68
    .language:       OpenCL C
    .language_version:
      - 2
      - 0
    .max_flat_workgroup_size: 128
    .name:           _ZN7rocprim17ROCPRIM_304000_NS6detail20lookback_scan_kernelILNS1_25lookback_scan_determinismE0ELb0ENS1_19wrapped_scan_configINS0_14default_configEN3c108BFloat16EEEPKS7_PS7_St4plusIS7_ES7_S7_NS1_19lookback_scan_stateIS7_Lb0ELb1EEEEEvT2_T3_mT5_T4_T7_jPT6_SM_bb
    .private_segment_fixed_size: 0
    .sgpr_count:     30
    .sgpr_spill_count: 0
    .symbol:         _ZN7rocprim17ROCPRIM_304000_NS6detail20lookback_scan_kernelILNS1_25lookback_scan_determinismE0ELb0ENS1_19wrapped_scan_configINS0_14default_configEN3c108BFloat16EEEPKS7_PS7_St4plusIS7_ES7_S7_NS1_19lookback_scan_stateIS7_Lb0ELb1EEEEEvT2_T3_mT5_T4_T7_jPT6_SM_bb.kd
    .uniform_work_group_size: 1
    .uses_dynamic_stack: false
    .vgpr_count:     53
    .vgpr_spill_count: 0
    .wavefront_size: 64
  - .agpr_count:     0
    .args:
      - .address_space:  global
        .offset:         0
        .size:           8
        .value_kind:     global_buffer
      - .offset:         8
        .size:           8
        .value_kind:     by_value
      - .address_space:  global
        .offset:         16
        .size:           8
        .value_kind:     global_buffer
      - .offset:         24
        .size:           1
        .value_kind:     by_value
      - .offset:         32
        .size:           4
        .value_kind:     hidden_block_count_x
      - .offset:         36
        .size:           4
        .value_kind:     hidden_block_count_y
      - .offset:         40
        .size:           4
        .value_kind:     hidden_block_count_z
      - .offset:         44
        .size:           2
        .value_kind:     hidden_group_size_x
      - .offset:         46
        .size:           2
        .value_kind:     hidden_group_size_y
      - .offset:         48
        .size:           2
        .value_kind:     hidden_group_size_z
      - .offset:         50
        .size:           2
        .value_kind:     hidden_remainder_x
      - .offset:         52
        .size:           2
        .value_kind:     hidden_remainder_y
      - .offset:         54
        .size:           2
        .value_kind:     hidden_remainder_z
      - .offset:         72
        .size:           8
        .value_kind:     hidden_global_offset_x
      - .offset:         80
        .size:           8
        .value_kind:     hidden_global_offset_y
      - .offset:         88
        .size:           8
        .value_kind:     hidden_global_offset_z
      - .offset:         96
        .size:           2
        .value_kind:     hidden_grid_dims
    .group_segment_fixed_size: 0
    .kernarg_segment_align: 8
    .kernarg_segment_size: 288
    .language:       OpenCL C
    .language_version:
      - 2
      - 0
    .max_flat_workgroup_size: 128
    .name:           _ZN7rocprim17ROCPRIM_304000_NS6detail16transform_kernelINS1_24wrapped_transform_configINS0_14default_configEN3c108BFloat16EEES6_PS6_S8_NS0_8identityIS6_EEEEvT1_mT2_T3_
    .private_segment_fixed_size: 0
    .sgpr_count:     18
    .sgpr_spill_count: 0
    .symbol:         _ZN7rocprim17ROCPRIM_304000_NS6detail16transform_kernelINS1_24wrapped_transform_configINS0_14default_configEN3c108BFloat16EEES6_PS6_S8_NS0_8identityIS6_EEEEvT1_mT2_T3_.kd
    .uniform_work_group_size: 1
    .uses_dynamic_stack: false
    .vgpr_count:     10
    .vgpr_spill_count: 0
    .wavefront_size: 64
  - .agpr_count:     0
    .args:
      - .address_space:  global
        .offset:         0
        .size:           8
        .value_kind:     global_buffer
      - .offset:         8
        .size:           8
        .value_kind:     by_value
      - .offset:         16
        .size:           2
        .value_kind:     by_value
      - .address_space:  global
        .offset:         24
        .size:           8
        .value_kind:     global_buffer
      - .offset:         32
        .size:           1
        .value_kind:     by_value
    .group_segment_fixed_size: 3584
    .kernarg_segment_align: 8
    .kernarg_segment_size: 36
    .language:       OpenCL C
    .language_version:
      - 2
      - 0
    .max_flat_workgroup_size: 128
    .name:           _ZN7rocprim17ROCPRIM_304000_NS6detail18single_scan_kernelILb0ENS1_19wrapped_scan_configINS0_14default_configEN3c108BFloat16EEEPKS6_PS6_St4plusIS6_ES6_S6_EEvT1_mT4_T2_T3_
    .private_segment_fixed_size: 0
    .sgpr_count:     42
    .sgpr_spill_count: 0
    .symbol:         _ZN7rocprim17ROCPRIM_304000_NS6detail18single_scan_kernelILb0ENS1_19wrapped_scan_configINS0_14default_configEN3c108BFloat16EEEPKS6_PS6_St4plusIS6_ES6_S6_EEvT1_mT4_T2_T3_.kd
    .uniform_work_group_size: 1
    .uses_dynamic_stack: false
    .vgpr_count:     26
    .vgpr_spill_count: 0
    .wavefront_size: 64
  - .agpr_count:     0
    .args:
      - .address_space:  global
        .offset:         0
        .size:           8
        .value_kind:     global_buffer
      - .address_space:  global
        .offset:         8
        .size:           8
        .value_kind:     global_buffer
      - .offset:         16
        .size:           4
        .value_kind:     by_value
      - .offset:         20
        .size:           4
        .value_kind:     by_value
      - .offset:         24
        .size:           4
        .value_kind:     by_value
      - .offset:         28
        .size:           2
        .value_kind:     by_value
      - .offset:         30
        .size:           1
        .value_kind:     by_value
      - .offset:         32
        .size:           4
        .value_kind:     hidden_block_count_x
      - .offset:         36
        .size:           4
        .value_kind:     hidden_block_count_y
      - .offset:         40
        .size:           4
        .value_kind:     hidden_block_count_z
      - .offset:         44
        .size:           2
        .value_kind:     hidden_group_size_x
      - .offset:         46
        .size:           2
        .value_kind:     hidden_group_size_y
      - .offset:         48
        .size:           2
        .value_kind:     hidden_group_size_z
      - .offset:         50
        .size:           2
        .value_kind:     hidden_remainder_x
      - .offset:         52
        .size:           2
        .value_kind:     hidden_remainder_y
      - .offset:         54
        .size:           2
        .value_kind:     hidden_remainder_z
      - .offset:         72
        .size:           8
        .value_kind:     hidden_global_offset_x
      - .offset:         80
        .size:           8
        .value_kind:     hidden_global_offset_y
      - .offset:         88
        .size:           8
        .value_kind:     hidden_global_offset_z
      - .offset:         96
        .size:           2
        .value_kind:     hidden_grid_dims
      - .offset:         152
        .size:           4
        .value_kind:     hidden_dynamic_lds_size
    .group_segment_fixed_size: 0
    .kernarg_segment_align: 8
    .kernarg_segment_size: 288
    .language:       OpenCL C
    .language_version:
      - 2
      - 0
    .max_flat_workgroup_size: 1024
    .name:           _ZN2at6native32tensor_kernel_scan_innermost_dimIN3c108BFloat16ESt4plusIS3_EEEvPT_PKS6_jjjS6_T0_
    .private_segment_fixed_size: 0
    .sgpr_count:     41
    .sgpr_spill_count: 0
    .symbol:         _ZN2at6native32tensor_kernel_scan_innermost_dimIN3c108BFloat16ESt4plusIS3_EEEvPT_PKS6_jjjS6_T0_.kd
    .uniform_work_group_size: 1
    .uses_dynamic_stack: false
    .vgpr_count:     25
    .vgpr_spill_count: 0
    .wavefront_size: 64
  - .agpr_count:     0
    .args:
      - .address_space:  global
        .offset:         0
        .size:           8
        .value_kind:     global_buffer
      - .address_space:  global
        .offset:         8
        .size:           8
        .value_kind:     global_buffer
      - .offset:         16
        .size:           4
        .value_kind:     by_value
      - .offset:         20
        .size:           4
        .value_kind:     by_value
      - .offset:         24
        .size:           4
        .value_kind:     by_value
      - .offset:         28
        .size:           2
        .value_kind:     by_value
      - .offset:         30
        .size:           1
        .value_kind:     by_value
      - .offset:         32
        .size:           4
        .value_kind:     hidden_block_count_x
      - .offset:         36
        .size:           4
        .value_kind:     hidden_block_count_y
      - .offset:         40
        .size:           4
        .value_kind:     hidden_block_count_z
      - .offset:         44
        .size:           2
        .value_kind:     hidden_group_size_x
      - .offset:         46
        .size:           2
        .value_kind:     hidden_group_size_y
      - .offset:         48
        .size:           2
        .value_kind:     hidden_group_size_z
      - .offset:         50
        .size:           2
        .value_kind:     hidden_remainder_x
      - .offset:         52
        .size:           2
        .value_kind:     hidden_remainder_y
      - .offset:         54
        .size:           2
        .value_kind:     hidden_remainder_z
      - .offset:         72
        .size:           8
        .value_kind:     hidden_global_offset_x
      - .offset:         80
        .size:           8
        .value_kind:     hidden_global_offset_y
      - .offset:         88
        .size:           8
        .value_kind:     hidden_global_offset_z
      - .offset:         96
        .size:           2
        .value_kind:     hidden_grid_dims
    .group_segment_fixed_size: 0
    .kernarg_segment_align: 8
    .kernarg_segment_size: 288
    .language:       OpenCL C
    .language_version:
      - 2
      - 0
    .max_flat_workgroup_size: 1024
    .name:           _ZN2at6native28tensor_kernel_scan_outer_dimIN3c108BFloat16EjSt4plusIS3_EEEvPT_PKS6_jjjS6_T1_
    .private_segment_fixed_size: 0
    .sgpr_count:     37
    .sgpr_spill_count: 0
    .symbol:         _ZN2at6native28tensor_kernel_scan_outer_dimIN3c108BFloat16EjSt4plusIS3_EEEvPT_PKS6_jjjS6_T1_.kd
    .uniform_work_group_size: 1
    .uses_dynamic_stack: false
    .vgpr_count:     10
    .vgpr_spill_count: 0
    .wavefront_size: 64
  - .agpr_count:     0
    .args:
      - .address_space:  global
        .offset:         0
        .size:           8
        .value_kind:     global_buffer
      - .address_space:  global
        .offset:         8
        .size:           8
        .value_kind:     global_buffer
      - .offset:         16
        .size:           4
        .value_kind:     by_value
      - .offset:         20
        .size:           4
        .value_kind:     by_value
      - .offset:         24
        .size:           4
        .value_kind:     by_value
      - .offset:         28
        .size:           2
        .value_kind:     by_value
      - .offset:         30
        .size:           1
        .value_kind:     by_value
      - .offset:         32
        .size:           4
        .value_kind:     hidden_block_count_x
      - .offset:         36
        .size:           4
        .value_kind:     hidden_block_count_y
      - .offset:         40
        .size:           4
        .value_kind:     hidden_block_count_z
      - .offset:         44
        .size:           2
        .value_kind:     hidden_group_size_x
      - .offset:         46
        .size:           2
        .value_kind:     hidden_group_size_y
      - .offset:         48
        .size:           2
        .value_kind:     hidden_group_size_z
      - .offset:         50
        .size:           2
        .value_kind:     hidden_remainder_x
      - .offset:         52
        .size:           2
        .value_kind:     hidden_remainder_y
      - .offset:         54
        .size:           2
        .value_kind:     hidden_remainder_z
      - .offset:         72
        .size:           8
        .value_kind:     hidden_global_offset_x
      - .offset:         80
        .size:           8
        .value_kind:     hidden_global_offset_y
      - .offset:         88
        .size:           8
        .value_kind:     hidden_global_offset_z
      - .offset:         96
        .size:           2
        .value_kind:     hidden_grid_dims
    .group_segment_fixed_size: 0
    .kernarg_segment_align: 8
    .kernarg_segment_size: 288
    .language:       OpenCL C
    .language_version:
      - 2
      - 0
    .max_flat_workgroup_size: 1024
    .name:           _ZN2at6native28tensor_kernel_scan_outer_dimIN3c108BFloat16EmSt4plusIS3_EEEvPT_PKS6_jjjS6_T1_
    .private_segment_fixed_size: 0
    .sgpr_count:     36
    .sgpr_spill_count: 0
    .symbol:         _ZN2at6native28tensor_kernel_scan_outer_dimIN3c108BFloat16EmSt4plusIS3_EEEvPT_PKS6_jjjS6_T1_.kd
    .uniform_work_group_size: 1
    .uses_dynamic_stack: false
    .vgpr_count:     10
    .vgpr_spill_count: 0
    .wavefront_size: 64
amdhsa.target:   amdgcn-amd-amdhsa--gfx950
amdhsa.version:
  - 1
  - 2
...

	.end_amdgpu_metadata
